;; amdgpu-corpus repo=ROCm/hip-tests kind=compiled arch=gfx1250 opt=O3
	.amdgcn_target "amdgcn-amd-amdhsa--gfx1250"
	.amdhsa_code_object_version 6
	.section	.text._Z19cvt_float_fp8_floatIfLb1EEvPT_m,"axG",@progbits,_Z19cvt_float_fp8_floatIfLb1EEvPT_m,comdat
	.protected	_Z19cvt_float_fp8_floatIfLb1EEvPT_m ; -- Begin function _Z19cvt_float_fp8_floatIfLb1EEvPT_m
	.globl	_Z19cvt_float_fp8_floatIfLb1EEvPT_m
	.p2align	8
	.type	_Z19cvt_float_fp8_floatIfLb1EEvPT_m,@function
_Z19cvt_float_fp8_floatIfLb1EEvPT_m:    ; @_Z19cvt_float_fp8_floatIfLb1EEvPT_m
; %bb.0:
	s_load_b128 s[0:3], s[0:1], 0x0
	v_mov_b32_e32 v1, 0
	s_wait_kmcnt 0x0
	s_delay_alu instid0(VALU_DEP_1)
	v_cmp_gt_u64_e32 vcc_lo, s[2:3], v[0:1]
	s_and_saveexec_b32 s2, vcc_lo
	s_cbranch_execz .LBB0_2
; %bb.1:
	global_store_b32 v0, v1, s[0:1] scale_offset
.LBB0_2:
	s_endpgm
	.section	.rodata,"a",@progbits
	.p2align	6, 0x0
	.amdhsa_kernel _Z19cvt_float_fp8_floatIfLb1EEvPT_m
		.amdhsa_group_segment_fixed_size 0
		.amdhsa_private_segment_fixed_size 0
		.amdhsa_kernarg_size 16
		.amdhsa_user_sgpr_count 2
		.amdhsa_user_sgpr_dispatch_ptr 0
		.amdhsa_user_sgpr_queue_ptr 0
		.amdhsa_user_sgpr_kernarg_segment_ptr 1
		.amdhsa_user_sgpr_dispatch_id 0
		.amdhsa_user_sgpr_kernarg_preload_length 0
		.amdhsa_user_sgpr_kernarg_preload_offset 0
		.amdhsa_user_sgpr_private_segment_size 0
		.amdhsa_wavefront_size32 1
		.amdhsa_uses_dynamic_stack 0
		.amdhsa_enable_private_segment 0
		.amdhsa_system_sgpr_workgroup_id_x 1
		.amdhsa_system_sgpr_workgroup_id_y 0
		.amdhsa_system_sgpr_workgroup_id_z 0
		.amdhsa_system_sgpr_workgroup_info 0
		.amdhsa_system_vgpr_workitem_id 0
		.amdhsa_next_free_vgpr 2
		.amdhsa_next_free_sgpr 4
		.amdhsa_named_barrier_count 0
		.amdhsa_reserve_vcc 1
		.amdhsa_float_round_mode_32 0
		.amdhsa_float_round_mode_16_64 0
		.amdhsa_float_denorm_mode_32 3
		.amdhsa_float_denorm_mode_16_64 3
		.amdhsa_fp16_overflow 0
		.amdhsa_memory_ordered 1
		.amdhsa_forward_progress 1
		.amdhsa_inst_pref_size 1
		.amdhsa_round_robin_scheduling 0
		.amdhsa_exception_fp_ieee_invalid_op 0
		.amdhsa_exception_fp_denorm_src 0
		.amdhsa_exception_fp_ieee_div_zero 0
		.amdhsa_exception_fp_ieee_overflow 0
		.amdhsa_exception_fp_ieee_underflow 0
		.amdhsa_exception_fp_ieee_inexact 0
		.amdhsa_exception_int_div_zero 0
	.end_amdhsa_kernel
	.section	.text._Z19cvt_float_fp8_floatIfLb1EEvPT_m,"axG",@progbits,_Z19cvt_float_fp8_floatIfLb1EEvPT_m,comdat
.Lfunc_end0:
	.size	_Z19cvt_float_fp8_floatIfLb1EEvPT_m, .Lfunc_end0-_Z19cvt_float_fp8_floatIfLb1EEvPT_m
                                        ; -- End function
	.set _Z19cvt_float_fp8_floatIfLb1EEvPT_m.num_vgpr, 2
	.set _Z19cvt_float_fp8_floatIfLb1EEvPT_m.num_agpr, 0
	.set _Z19cvt_float_fp8_floatIfLb1EEvPT_m.numbered_sgpr, 4
	.set _Z19cvt_float_fp8_floatIfLb1EEvPT_m.num_named_barrier, 0
	.set _Z19cvt_float_fp8_floatIfLb1EEvPT_m.private_seg_size, 0
	.set _Z19cvt_float_fp8_floatIfLb1EEvPT_m.uses_vcc, 1
	.set _Z19cvt_float_fp8_floatIfLb1EEvPT_m.uses_flat_scratch, 0
	.set _Z19cvt_float_fp8_floatIfLb1EEvPT_m.has_dyn_sized_stack, 0
	.set _Z19cvt_float_fp8_floatIfLb1EEvPT_m.has_recursion, 0
	.set _Z19cvt_float_fp8_floatIfLb1EEvPT_m.has_indirect_call, 0
	.section	.AMDGPU.csdata,"",@progbits
; Kernel info:
; codeLenInByte = 48
; TotalNumSgprs: 6
; NumVgprs: 2
; ScratchSize: 0
; MemoryBound: 0
; FloatMode: 240
; IeeeMode: 1
; LDSByteSize: 0 bytes/workgroup (compile time only)
; SGPRBlocks: 0
; VGPRBlocks: 0
; NumSGPRsForWavesPerEU: 6
; NumVGPRsForWavesPerEU: 2
; NamedBarCnt: 0
; Occupancy: 16
; WaveLimiterHint : 0
; COMPUTE_PGM_RSRC2:SCRATCH_EN: 0
; COMPUTE_PGM_RSRC2:USER_SGPR: 2
; COMPUTE_PGM_RSRC2:TRAP_HANDLER: 0
; COMPUTE_PGM_RSRC2:TGID_X_EN: 1
; COMPUTE_PGM_RSRC2:TGID_Y_EN: 0
; COMPUTE_PGM_RSRC2:TGID_Z_EN: 0
; COMPUTE_PGM_RSRC2:TIDIG_COMP_CNT: 0
	.section	.text._Z19cvt_float_fp8_floatIfLb0EEvPT_m,"axG",@progbits,_Z19cvt_float_fp8_floatIfLb0EEvPT_m,comdat
	.protected	_Z19cvt_float_fp8_floatIfLb0EEvPT_m ; -- Begin function _Z19cvt_float_fp8_floatIfLb0EEvPT_m
	.globl	_Z19cvt_float_fp8_floatIfLb0EEvPT_m
	.p2align	8
	.type	_Z19cvt_float_fp8_floatIfLb0EEvPT_m,@function
_Z19cvt_float_fp8_floatIfLb0EEvPT_m:    ; @_Z19cvt_float_fp8_floatIfLb0EEvPT_m
; %bb.0:
	s_load_b128 s[0:3], s[0:1], 0x0
	v_mov_b32_e32 v1, 0
	s_wait_kmcnt 0x0
	s_delay_alu instid0(VALU_DEP_1)
	v_cmp_gt_u64_e32 vcc_lo, s[2:3], v[0:1]
	s_and_saveexec_b32 s2, vcc_lo
	s_cbranch_execz .LBB1_2
; %bb.1:
	global_store_b32 v0, v1, s[0:1] scale_offset
.LBB1_2:
	s_endpgm
	.section	.rodata,"a",@progbits
	.p2align	6, 0x0
	.amdhsa_kernel _Z19cvt_float_fp8_floatIfLb0EEvPT_m
		.amdhsa_group_segment_fixed_size 0
		.amdhsa_private_segment_fixed_size 0
		.amdhsa_kernarg_size 16
		.amdhsa_user_sgpr_count 2
		.amdhsa_user_sgpr_dispatch_ptr 0
		.amdhsa_user_sgpr_queue_ptr 0
		.amdhsa_user_sgpr_kernarg_segment_ptr 1
		.amdhsa_user_sgpr_dispatch_id 0
		.amdhsa_user_sgpr_kernarg_preload_length 0
		.amdhsa_user_sgpr_kernarg_preload_offset 0
		.amdhsa_user_sgpr_private_segment_size 0
		.amdhsa_wavefront_size32 1
		.amdhsa_uses_dynamic_stack 0
		.amdhsa_enable_private_segment 0
		.amdhsa_system_sgpr_workgroup_id_x 1
		.amdhsa_system_sgpr_workgroup_id_y 0
		.amdhsa_system_sgpr_workgroup_id_z 0
		.amdhsa_system_sgpr_workgroup_info 0
		.amdhsa_system_vgpr_workitem_id 0
		.amdhsa_next_free_vgpr 2
		.amdhsa_next_free_sgpr 4
		.amdhsa_named_barrier_count 0
		.amdhsa_reserve_vcc 1
		.amdhsa_float_round_mode_32 0
		.amdhsa_float_round_mode_16_64 0
		.amdhsa_float_denorm_mode_32 3
		.amdhsa_float_denorm_mode_16_64 3
		.amdhsa_fp16_overflow 0
		.amdhsa_memory_ordered 1
		.amdhsa_forward_progress 1
		.amdhsa_inst_pref_size 1
		.amdhsa_round_robin_scheduling 0
		.amdhsa_exception_fp_ieee_invalid_op 0
		.amdhsa_exception_fp_denorm_src 0
		.amdhsa_exception_fp_ieee_div_zero 0
		.amdhsa_exception_fp_ieee_overflow 0
		.amdhsa_exception_fp_ieee_underflow 0
		.amdhsa_exception_fp_ieee_inexact 0
		.amdhsa_exception_int_div_zero 0
	.end_amdhsa_kernel
	.section	.text._Z19cvt_float_fp8_floatIfLb0EEvPT_m,"axG",@progbits,_Z19cvt_float_fp8_floatIfLb0EEvPT_m,comdat
.Lfunc_end1:
	.size	_Z19cvt_float_fp8_floatIfLb0EEvPT_m, .Lfunc_end1-_Z19cvt_float_fp8_floatIfLb0EEvPT_m
                                        ; -- End function
	.set _Z19cvt_float_fp8_floatIfLb0EEvPT_m.num_vgpr, 2
	.set _Z19cvt_float_fp8_floatIfLb0EEvPT_m.num_agpr, 0
	.set _Z19cvt_float_fp8_floatIfLb0EEvPT_m.numbered_sgpr, 4
	.set _Z19cvt_float_fp8_floatIfLb0EEvPT_m.num_named_barrier, 0
	.set _Z19cvt_float_fp8_floatIfLb0EEvPT_m.private_seg_size, 0
	.set _Z19cvt_float_fp8_floatIfLb0EEvPT_m.uses_vcc, 1
	.set _Z19cvt_float_fp8_floatIfLb0EEvPT_m.uses_flat_scratch, 0
	.set _Z19cvt_float_fp8_floatIfLb0EEvPT_m.has_dyn_sized_stack, 0
	.set _Z19cvt_float_fp8_floatIfLb0EEvPT_m.has_recursion, 0
	.set _Z19cvt_float_fp8_floatIfLb0EEvPT_m.has_indirect_call, 0
	.section	.AMDGPU.csdata,"",@progbits
; Kernel info:
; codeLenInByte = 48
; TotalNumSgprs: 6
; NumVgprs: 2
; ScratchSize: 0
; MemoryBound: 0
; FloatMode: 240
; IeeeMode: 1
; LDSByteSize: 0 bytes/workgroup (compile time only)
; SGPRBlocks: 0
; VGPRBlocks: 0
; NumSGPRsForWavesPerEU: 6
; NumVGPRsForWavesPerEU: 2
; NamedBarCnt: 0
; Occupancy: 16
; WaveLimiterHint : 0
; COMPUTE_PGM_RSRC2:SCRATCH_EN: 0
; COMPUTE_PGM_RSRC2:USER_SGPR: 2
; COMPUTE_PGM_RSRC2:TRAP_HANDLER: 0
; COMPUTE_PGM_RSRC2:TGID_X_EN: 1
; COMPUTE_PGM_RSRC2:TGID_Y_EN: 0
; COMPUTE_PGM_RSRC2:TGID_Z_EN: 0
; COMPUTE_PGM_RSRC2:TIDIG_COMP_CNT: 0
	.section	.text._Z19cvt_float_fp8_floatIdLb1EEvPT_m,"axG",@progbits,_Z19cvt_float_fp8_floatIdLb1EEvPT_m,comdat
	.protected	_Z19cvt_float_fp8_floatIdLb1EEvPT_m ; -- Begin function _Z19cvt_float_fp8_floatIdLb1EEvPT_m
	.globl	_Z19cvt_float_fp8_floatIdLb1EEvPT_m
	.p2align	8
	.type	_Z19cvt_float_fp8_floatIdLb1EEvPT_m,@function
_Z19cvt_float_fp8_floatIdLb1EEvPT_m:    ; @_Z19cvt_float_fp8_floatIdLb1EEvPT_m
; %bb.0:
	s_load_b128 s[0:3], s[0:1], 0x0
	v_mov_b32_e32 v1, 0
	s_wait_kmcnt 0x0
	s_delay_alu instid0(VALU_DEP_1)
	v_cmp_gt_u64_e32 vcc_lo, s[2:3], v[0:1]
	s_and_saveexec_b32 s2, vcc_lo
	s_cbranch_execz .LBB2_2
; %bb.1:
	v_mov_b64_e32 v[2:3], 0
	global_store_b64 v0, v[2:3], s[0:1] scale_offset
.LBB2_2:
	s_endpgm
	.section	.rodata,"a",@progbits
	.p2align	6, 0x0
	.amdhsa_kernel _Z19cvt_float_fp8_floatIdLb1EEvPT_m
		.amdhsa_group_segment_fixed_size 0
		.amdhsa_private_segment_fixed_size 0
		.amdhsa_kernarg_size 16
		.amdhsa_user_sgpr_count 2
		.amdhsa_user_sgpr_dispatch_ptr 0
		.amdhsa_user_sgpr_queue_ptr 0
		.amdhsa_user_sgpr_kernarg_segment_ptr 1
		.amdhsa_user_sgpr_dispatch_id 0
		.amdhsa_user_sgpr_kernarg_preload_length 0
		.amdhsa_user_sgpr_kernarg_preload_offset 0
		.amdhsa_user_sgpr_private_segment_size 0
		.amdhsa_wavefront_size32 1
		.amdhsa_uses_dynamic_stack 0
		.amdhsa_enable_private_segment 0
		.amdhsa_system_sgpr_workgroup_id_x 1
		.amdhsa_system_sgpr_workgroup_id_y 0
		.amdhsa_system_sgpr_workgroup_id_z 0
		.amdhsa_system_sgpr_workgroup_info 0
		.amdhsa_system_vgpr_workitem_id 0
		.amdhsa_next_free_vgpr 4
		.amdhsa_next_free_sgpr 4
		.amdhsa_named_barrier_count 0
		.amdhsa_reserve_vcc 1
		.amdhsa_float_round_mode_32 0
		.amdhsa_float_round_mode_16_64 0
		.amdhsa_float_denorm_mode_32 3
		.amdhsa_float_denorm_mode_16_64 3
		.amdhsa_fp16_overflow 0
		.amdhsa_memory_ordered 1
		.amdhsa_forward_progress 1
		.amdhsa_inst_pref_size 1
		.amdhsa_round_robin_scheduling 0
		.amdhsa_exception_fp_ieee_invalid_op 0
		.amdhsa_exception_fp_denorm_src 0
		.amdhsa_exception_fp_ieee_div_zero 0
		.amdhsa_exception_fp_ieee_overflow 0
		.amdhsa_exception_fp_ieee_underflow 0
		.amdhsa_exception_fp_ieee_inexact 0
		.amdhsa_exception_int_div_zero 0
	.end_amdhsa_kernel
	.section	.text._Z19cvt_float_fp8_floatIdLb1EEvPT_m,"axG",@progbits,_Z19cvt_float_fp8_floatIdLb1EEvPT_m,comdat
.Lfunc_end2:
	.size	_Z19cvt_float_fp8_floatIdLb1EEvPT_m, .Lfunc_end2-_Z19cvt_float_fp8_floatIdLb1EEvPT_m
                                        ; -- End function
	.set _Z19cvt_float_fp8_floatIdLb1EEvPT_m.num_vgpr, 4
	.set _Z19cvt_float_fp8_floatIdLb1EEvPT_m.num_agpr, 0
	.set _Z19cvt_float_fp8_floatIdLb1EEvPT_m.numbered_sgpr, 4
	.set _Z19cvt_float_fp8_floatIdLb1EEvPT_m.num_named_barrier, 0
	.set _Z19cvt_float_fp8_floatIdLb1EEvPT_m.private_seg_size, 0
	.set _Z19cvt_float_fp8_floatIdLb1EEvPT_m.uses_vcc, 1
	.set _Z19cvt_float_fp8_floatIdLb1EEvPT_m.uses_flat_scratch, 0
	.set _Z19cvt_float_fp8_floatIdLb1EEvPT_m.has_dyn_sized_stack, 0
	.set _Z19cvt_float_fp8_floatIdLb1EEvPT_m.has_recursion, 0
	.set _Z19cvt_float_fp8_floatIdLb1EEvPT_m.has_indirect_call, 0
	.section	.AMDGPU.csdata,"",@progbits
; Kernel info:
; codeLenInByte = 52
; TotalNumSgprs: 6
; NumVgprs: 4
; ScratchSize: 0
; MemoryBound: 0
; FloatMode: 240
; IeeeMode: 1
; LDSByteSize: 0 bytes/workgroup (compile time only)
; SGPRBlocks: 0
; VGPRBlocks: 0
; NumSGPRsForWavesPerEU: 6
; NumVGPRsForWavesPerEU: 4
; NamedBarCnt: 0
; Occupancy: 16
; WaveLimiterHint : 0
; COMPUTE_PGM_RSRC2:SCRATCH_EN: 0
; COMPUTE_PGM_RSRC2:USER_SGPR: 2
; COMPUTE_PGM_RSRC2:TRAP_HANDLER: 0
; COMPUTE_PGM_RSRC2:TGID_X_EN: 1
; COMPUTE_PGM_RSRC2:TGID_Y_EN: 0
; COMPUTE_PGM_RSRC2:TGID_Z_EN: 0
; COMPUTE_PGM_RSRC2:TIDIG_COMP_CNT: 0
	.section	.text._Z19cvt_float_fp8_floatIdLb0EEvPT_m,"axG",@progbits,_Z19cvt_float_fp8_floatIdLb0EEvPT_m,comdat
	.protected	_Z19cvt_float_fp8_floatIdLb0EEvPT_m ; -- Begin function _Z19cvt_float_fp8_floatIdLb0EEvPT_m
	.globl	_Z19cvt_float_fp8_floatIdLb0EEvPT_m
	.p2align	8
	.type	_Z19cvt_float_fp8_floatIdLb0EEvPT_m,@function
_Z19cvt_float_fp8_floatIdLb0EEvPT_m:    ; @_Z19cvt_float_fp8_floatIdLb0EEvPT_m
; %bb.0:
	s_load_b128 s[0:3], s[0:1], 0x0
	v_mov_b32_e32 v1, 0
	s_wait_kmcnt 0x0
	s_delay_alu instid0(VALU_DEP_1)
	v_cmp_gt_u64_e32 vcc_lo, s[2:3], v[0:1]
	s_and_saveexec_b32 s2, vcc_lo
	s_cbranch_execz .LBB3_2
; %bb.1:
	v_mov_b64_e32 v[2:3], 0
	global_store_b64 v0, v[2:3], s[0:1] scale_offset
.LBB3_2:
	s_endpgm
	.section	.rodata,"a",@progbits
	.p2align	6, 0x0
	.amdhsa_kernel _Z19cvt_float_fp8_floatIdLb0EEvPT_m
		.amdhsa_group_segment_fixed_size 0
		.amdhsa_private_segment_fixed_size 0
		.amdhsa_kernarg_size 16
		.amdhsa_user_sgpr_count 2
		.amdhsa_user_sgpr_dispatch_ptr 0
		.amdhsa_user_sgpr_queue_ptr 0
		.amdhsa_user_sgpr_kernarg_segment_ptr 1
		.amdhsa_user_sgpr_dispatch_id 0
		.amdhsa_user_sgpr_kernarg_preload_length 0
		.amdhsa_user_sgpr_kernarg_preload_offset 0
		.amdhsa_user_sgpr_private_segment_size 0
		.amdhsa_wavefront_size32 1
		.amdhsa_uses_dynamic_stack 0
		.amdhsa_enable_private_segment 0
		.amdhsa_system_sgpr_workgroup_id_x 1
		.amdhsa_system_sgpr_workgroup_id_y 0
		.amdhsa_system_sgpr_workgroup_id_z 0
		.amdhsa_system_sgpr_workgroup_info 0
		.amdhsa_system_vgpr_workitem_id 0
		.amdhsa_next_free_vgpr 4
		.amdhsa_next_free_sgpr 4
		.amdhsa_named_barrier_count 0
		.amdhsa_reserve_vcc 1
		.amdhsa_float_round_mode_32 0
		.amdhsa_float_round_mode_16_64 0
		.amdhsa_float_denorm_mode_32 3
		.amdhsa_float_denorm_mode_16_64 3
		.amdhsa_fp16_overflow 0
		.amdhsa_memory_ordered 1
		.amdhsa_forward_progress 1
		.amdhsa_inst_pref_size 1
		.amdhsa_round_robin_scheduling 0
		.amdhsa_exception_fp_ieee_invalid_op 0
		.amdhsa_exception_fp_denorm_src 0
		.amdhsa_exception_fp_ieee_div_zero 0
		.amdhsa_exception_fp_ieee_overflow 0
		.amdhsa_exception_fp_ieee_underflow 0
		.amdhsa_exception_fp_ieee_inexact 0
		.amdhsa_exception_int_div_zero 0
	.end_amdhsa_kernel
	.section	.text._Z19cvt_float_fp8_floatIdLb0EEvPT_m,"axG",@progbits,_Z19cvt_float_fp8_floatIdLb0EEvPT_m,comdat
.Lfunc_end3:
	.size	_Z19cvt_float_fp8_floatIdLb0EEvPT_m, .Lfunc_end3-_Z19cvt_float_fp8_floatIdLb0EEvPT_m
                                        ; -- End function
	.set _Z19cvt_float_fp8_floatIdLb0EEvPT_m.num_vgpr, 4
	.set _Z19cvt_float_fp8_floatIdLb0EEvPT_m.num_agpr, 0
	.set _Z19cvt_float_fp8_floatIdLb0EEvPT_m.numbered_sgpr, 4
	.set _Z19cvt_float_fp8_floatIdLb0EEvPT_m.num_named_barrier, 0
	.set _Z19cvt_float_fp8_floatIdLb0EEvPT_m.private_seg_size, 0
	.set _Z19cvt_float_fp8_floatIdLb0EEvPT_m.uses_vcc, 1
	.set _Z19cvt_float_fp8_floatIdLb0EEvPT_m.uses_flat_scratch, 0
	.set _Z19cvt_float_fp8_floatIdLb0EEvPT_m.has_dyn_sized_stack, 0
	.set _Z19cvt_float_fp8_floatIdLb0EEvPT_m.has_recursion, 0
	.set _Z19cvt_float_fp8_floatIdLb0EEvPT_m.has_indirect_call, 0
	.section	.AMDGPU.csdata,"",@progbits
; Kernel info:
; codeLenInByte = 52
; TotalNumSgprs: 6
; NumVgprs: 4
; ScratchSize: 0
; MemoryBound: 0
; FloatMode: 240
; IeeeMode: 1
; LDSByteSize: 0 bytes/workgroup (compile time only)
; SGPRBlocks: 0
; VGPRBlocks: 0
; NumSGPRsForWavesPerEU: 6
; NumVGPRsForWavesPerEU: 4
; NamedBarCnt: 0
; Occupancy: 16
; WaveLimiterHint : 0
; COMPUTE_PGM_RSRC2:SCRATCH_EN: 0
; COMPUTE_PGM_RSRC2:USER_SGPR: 2
; COMPUTE_PGM_RSRC2:TRAP_HANDLER: 0
; COMPUTE_PGM_RSRC2:TGID_X_EN: 1
; COMPUTE_PGM_RSRC2:TGID_Y_EN: 0
; COMPUTE_PGM_RSRC2:TGID_Z_EN: 0
; COMPUTE_PGM_RSRC2:TIDIG_COMP_CNT: 0
	.section	.text._Z23cvt_float2_fp8x2_float2ILb1EEvP15HIP_vector_typeIfLj2EEm,"axG",@progbits,_Z23cvt_float2_fp8x2_float2ILb1EEvP15HIP_vector_typeIfLj2EEm,comdat
	.protected	_Z23cvt_float2_fp8x2_float2ILb1EEvP15HIP_vector_typeIfLj2EEm ; -- Begin function _Z23cvt_float2_fp8x2_float2ILb1EEvP15HIP_vector_typeIfLj2EEm
	.globl	_Z23cvt_float2_fp8x2_float2ILb1EEvP15HIP_vector_typeIfLj2EEm
	.p2align	8
	.type	_Z23cvt_float2_fp8x2_float2ILb1EEvP15HIP_vector_typeIfLj2EEm,@function
_Z23cvt_float2_fp8x2_float2ILb1EEvP15HIP_vector_typeIfLj2EEm: ; @_Z23cvt_float2_fp8x2_float2ILb1EEvP15HIP_vector_typeIfLj2EEm
; %bb.0:
	s_load_b128 s[0:3], s[0:1], 0x0
	v_mov_b32_e32 v1, 0
	s_wait_kmcnt 0x0
	s_delay_alu instid0(VALU_DEP_1)
	v_cmp_gt_u64_e32 vcc_lo, s[2:3], v[0:1]
	s_and_saveexec_b32 s2, vcc_lo
	s_cbranch_execz .LBB4_2
; %bb.1:
	v_mov_b64_e32 v[2:3], 0
	global_store_b64 v0, v[2:3], s[0:1] scale_offset
.LBB4_2:
	s_endpgm
	.section	.rodata,"a",@progbits
	.p2align	6, 0x0
	.amdhsa_kernel _Z23cvt_float2_fp8x2_float2ILb1EEvP15HIP_vector_typeIfLj2EEm
		.amdhsa_group_segment_fixed_size 0
		.amdhsa_private_segment_fixed_size 0
		.amdhsa_kernarg_size 16
		.amdhsa_user_sgpr_count 2
		.amdhsa_user_sgpr_dispatch_ptr 0
		.amdhsa_user_sgpr_queue_ptr 0
		.amdhsa_user_sgpr_kernarg_segment_ptr 1
		.amdhsa_user_sgpr_dispatch_id 0
		.amdhsa_user_sgpr_kernarg_preload_length 0
		.amdhsa_user_sgpr_kernarg_preload_offset 0
		.amdhsa_user_sgpr_private_segment_size 0
		.amdhsa_wavefront_size32 1
		.amdhsa_uses_dynamic_stack 0
		.amdhsa_enable_private_segment 0
		.amdhsa_system_sgpr_workgroup_id_x 1
		.amdhsa_system_sgpr_workgroup_id_y 0
		.amdhsa_system_sgpr_workgroup_id_z 0
		.amdhsa_system_sgpr_workgroup_info 0
		.amdhsa_system_vgpr_workitem_id 0
		.amdhsa_next_free_vgpr 4
		.amdhsa_next_free_sgpr 4
		.amdhsa_named_barrier_count 0
		.amdhsa_reserve_vcc 1
		.amdhsa_float_round_mode_32 0
		.amdhsa_float_round_mode_16_64 0
		.amdhsa_float_denorm_mode_32 3
		.amdhsa_float_denorm_mode_16_64 3
		.amdhsa_fp16_overflow 0
		.amdhsa_memory_ordered 1
		.amdhsa_forward_progress 1
		.amdhsa_inst_pref_size 1
		.amdhsa_round_robin_scheduling 0
		.amdhsa_exception_fp_ieee_invalid_op 0
		.amdhsa_exception_fp_denorm_src 0
		.amdhsa_exception_fp_ieee_div_zero 0
		.amdhsa_exception_fp_ieee_overflow 0
		.amdhsa_exception_fp_ieee_underflow 0
		.amdhsa_exception_fp_ieee_inexact 0
		.amdhsa_exception_int_div_zero 0
	.end_amdhsa_kernel
	.section	.text._Z23cvt_float2_fp8x2_float2ILb1EEvP15HIP_vector_typeIfLj2EEm,"axG",@progbits,_Z23cvt_float2_fp8x2_float2ILb1EEvP15HIP_vector_typeIfLj2EEm,comdat
.Lfunc_end4:
	.size	_Z23cvt_float2_fp8x2_float2ILb1EEvP15HIP_vector_typeIfLj2EEm, .Lfunc_end4-_Z23cvt_float2_fp8x2_float2ILb1EEvP15HIP_vector_typeIfLj2EEm
                                        ; -- End function
	.set _Z23cvt_float2_fp8x2_float2ILb1EEvP15HIP_vector_typeIfLj2EEm.num_vgpr, 4
	.set _Z23cvt_float2_fp8x2_float2ILb1EEvP15HIP_vector_typeIfLj2EEm.num_agpr, 0
	.set _Z23cvt_float2_fp8x2_float2ILb1EEvP15HIP_vector_typeIfLj2EEm.numbered_sgpr, 4
	.set _Z23cvt_float2_fp8x2_float2ILb1EEvP15HIP_vector_typeIfLj2EEm.num_named_barrier, 0
	.set _Z23cvt_float2_fp8x2_float2ILb1EEvP15HIP_vector_typeIfLj2EEm.private_seg_size, 0
	.set _Z23cvt_float2_fp8x2_float2ILb1EEvP15HIP_vector_typeIfLj2EEm.uses_vcc, 1
	.set _Z23cvt_float2_fp8x2_float2ILb1EEvP15HIP_vector_typeIfLj2EEm.uses_flat_scratch, 0
	.set _Z23cvt_float2_fp8x2_float2ILb1EEvP15HIP_vector_typeIfLj2EEm.has_dyn_sized_stack, 0
	.set _Z23cvt_float2_fp8x2_float2ILb1EEvP15HIP_vector_typeIfLj2EEm.has_recursion, 0
	.set _Z23cvt_float2_fp8x2_float2ILb1EEvP15HIP_vector_typeIfLj2EEm.has_indirect_call, 0
	.section	.AMDGPU.csdata,"",@progbits
; Kernel info:
; codeLenInByte = 52
; TotalNumSgprs: 6
; NumVgprs: 4
; ScratchSize: 0
; MemoryBound: 0
; FloatMode: 240
; IeeeMode: 1
; LDSByteSize: 0 bytes/workgroup (compile time only)
; SGPRBlocks: 0
; VGPRBlocks: 0
; NumSGPRsForWavesPerEU: 6
; NumVGPRsForWavesPerEU: 4
; NamedBarCnt: 0
; Occupancy: 16
; WaveLimiterHint : 0
; COMPUTE_PGM_RSRC2:SCRATCH_EN: 0
; COMPUTE_PGM_RSRC2:USER_SGPR: 2
; COMPUTE_PGM_RSRC2:TRAP_HANDLER: 0
; COMPUTE_PGM_RSRC2:TGID_X_EN: 1
; COMPUTE_PGM_RSRC2:TGID_Y_EN: 0
; COMPUTE_PGM_RSRC2:TGID_Z_EN: 0
; COMPUTE_PGM_RSRC2:TIDIG_COMP_CNT: 0
	.section	.text._Z23cvt_float2_fp8x2_float2ILb0EEvP15HIP_vector_typeIfLj2EEm,"axG",@progbits,_Z23cvt_float2_fp8x2_float2ILb0EEvP15HIP_vector_typeIfLj2EEm,comdat
	.protected	_Z23cvt_float2_fp8x2_float2ILb0EEvP15HIP_vector_typeIfLj2EEm ; -- Begin function _Z23cvt_float2_fp8x2_float2ILb0EEvP15HIP_vector_typeIfLj2EEm
	.globl	_Z23cvt_float2_fp8x2_float2ILb0EEvP15HIP_vector_typeIfLj2EEm
	.p2align	8
	.type	_Z23cvt_float2_fp8x2_float2ILb0EEvP15HIP_vector_typeIfLj2EEm,@function
_Z23cvt_float2_fp8x2_float2ILb0EEvP15HIP_vector_typeIfLj2EEm: ; @_Z23cvt_float2_fp8x2_float2ILb0EEvP15HIP_vector_typeIfLj2EEm
; %bb.0:
	s_load_b128 s[0:3], s[0:1], 0x0
	v_mov_b32_e32 v1, 0
	s_wait_kmcnt 0x0
	s_delay_alu instid0(VALU_DEP_1)
	v_cmp_gt_u64_e32 vcc_lo, s[2:3], v[0:1]
	s_and_saveexec_b32 s2, vcc_lo
	s_cbranch_execz .LBB5_2
; %bb.1:
	v_mov_b64_e32 v[2:3], 0
	global_store_b64 v0, v[2:3], s[0:1] scale_offset
.LBB5_2:
	s_endpgm
	.section	.rodata,"a",@progbits
	.p2align	6, 0x0
	.amdhsa_kernel _Z23cvt_float2_fp8x2_float2ILb0EEvP15HIP_vector_typeIfLj2EEm
		.amdhsa_group_segment_fixed_size 0
		.amdhsa_private_segment_fixed_size 0
		.amdhsa_kernarg_size 16
		.amdhsa_user_sgpr_count 2
		.amdhsa_user_sgpr_dispatch_ptr 0
		.amdhsa_user_sgpr_queue_ptr 0
		.amdhsa_user_sgpr_kernarg_segment_ptr 1
		.amdhsa_user_sgpr_dispatch_id 0
		.amdhsa_user_sgpr_kernarg_preload_length 0
		.amdhsa_user_sgpr_kernarg_preload_offset 0
		.amdhsa_user_sgpr_private_segment_size 0
		.amdhsa_wavefront_size32 1
		.amdhsa_uses_dynamic_stack 0
		.amdhsa_enable_private_segment 0
		.amdhsa_system_sgpr_workgroup_id_x 1
		.amdhsa_system_sgpr_workgroup_id_y 0
		.amdhsa_system_sgpr_workgroup_id_z 0
		.amdhsa_system_sgpr_workgroup_info 0
		.amdhsa_system_vgpr_workitem_id 0
		.amdhsa_next_free_vgpr 4
		.amdhsa_next_free_sgpr 4
		.amdhsa_named_barrier_count 0
		.amdhsa_reserve_vcc 1
		.amdhsa_float_round_mode_32 0
		.amdhsa_float_round_mode_16_64 0
		.amdhsa_float_denorm_mode_32 3
		.amdhsa_float_denorm_mode_16_64 3
		.amdhsa_fp16_overflow 0
		.amdhsa_memory_ordered 1
		.amdhsa_forward_progress 1
		.amdhsa_inst_pref_size 1
		.amdhsa_round_robin_scheduling 0
		.amdhsa_exception_fp_ieee_invalid_op 0
		.amdhsa_exception_fp_denorm_src 0
		.amdhsa_exception_fp_ieee_div_zero 0
		.amdhsa_exception_fp_ieee_overflow 0
		.amdhsa_exception_fp_ieee_underflow 0
		.amdhsa_exception_fp_ieee_inexact 0
		.amdhsa_exception_int_div_zero 0
	.end_amdhsa_kernel
	.section	.text._Z23cvt_float2_fp8x2_float2ILb0EEvP15HIP_vector_typeIfLj2EEm,"axG",@progbits,_Z23cvt_float2_fp8x2_float2ILb0EEvP15HIP_vector_typeIfLj2EEm,comdat
.Lfunc_end5:
	.size	_Z23cvt_float2_fp8x2_float2ILb0EEvP15HIP_vector_typeIfLj2EEm, .Lfunc_end5-_Z23cvt_float2_fp8x2_float2ILb0EEvP15HIP_vector_typeIfLj2EEm
                                        ; -- End function
	.set _Z23cvt_float2_fp8x2_float2ILb0EEvP15HIP_vector_typeIfLj2EEm.num_vgpr, 4
	.set _Z23cvt_float2_fp8x2_float2ILb0EEvP15HIP_vector_typeIfLj2EEm.num_agpr, 0
	.set _Z23cvt_float2_fp8x2_float2ILb0EEvP15HIP_vector_typeIfLj2EEm.numbered_sgpr, 4
	.set _Z23cvt_float2_fp8x2_float2ILb0EEvP15HIP_vector_typeIfLj2EEm.num_named_barrier, 0
	.set _Z23cvt_float2_fp8x2_float2ILb0EEvP15HIP_vector_typeIfLj2EEm.private_seg_size, 0
	.set _Z23cvt_float2_fp8x2_float2ILb0EEvP15HIP_vector_typeIfLj2EEm.uses_vcc, 1
	.set _Z23cvt_float2_fp8x2_float2ILb0EEvP15HIP_vector_typeIfLj2EEm.uses_flat_scratch, 0
	.set _Z23cvt_float2_fp8x2_float2ILb0EEvP15HIP_vector_typeIfLj2EEm.has_dyn_sized_stack, 0
	.set _Z23cvt_float2_fp8x2_float2ILb0EEvP15HIP_vector_typeIfLj2EEm.has_recursion, 0
	.set _Z23cvt_float2_fp8x2_float2ILb0EEvP15HIP_vector_typeIfLj2EEm.has_indirect_call, 0
	.section	.AMDGPU.csdata,"",@progbits
; Kernel info:
; codeLenInByte = 52
; TotalNumSgprs: 6
; NumVgprs: 4
; ScratchSize: 0
; MemoryBound: 0
; FloatMode: 240
; IeeeMode: 1
; LDSByteSize: 0 bytes/workgroup (compile time only)
; SGPRBlocks: 0
; VGPRBlocks: 0
; NumSGPRsForWavesPerEU: 6
; NumVGPRsForWavesPerEU: 4
; NamedBarCnt: 0
; Occupancy: 16
; WaveLimiterHint : 0
; COMPUTE_PGM_RSRC2:SCRATCH_EN: 0
; COMPUTE_PGM_RSRC2:USER_SGPR: 2
; COMPUTE_PGM_RSRC2:TRAP_HANDLER: 0
; COMPUTE_PGM_RSRC2:TGID_X_EN: 1
; COMPUTE_PGM_RSRC2:TGID_Y_EN: 0
; COMPUTE_PGM_RSRC2:TGID_Z_EN: 0
; COMPUTE_PGM_RSRC2:TIDIG_COMP_CNT: 0
	.section	.text._Z23cvt_float4_fp8x4_float4ILb1EEvP15HIP_vector_typeIfLj4EEm,"axG",@progbits,_Z23cvt_float4_fp8x4_float4ILb1EEvP15HIP_vector_typeIfLj4EEm,comdat
	.protected	_Z23cvt_float4_fp8x4_float4ILb1EEvP15HIP_vector_typeIfLj4EEm ; -- Begin function _Z23cvt_float4_fp8x4_float4ILb1EEvP15HIP_vector_typeIfLj4EEm
	.globl	_Z23cvt_float4_fp8x4_float4ILb1EEvP15HIP_vector_typeIfLj4EEm
	.p2align	8
	.type	_Z23cvt_float4_fp8x4_float4ILb1EEvP15HIP_vector_typeIfLj4EEm,@function
_Z23cvt_float4_fp8x4_float4ILb1EEvP15HIP_vector_typeIfLj4EEm: ; @_Z23cvt_float4_fp8x4_float4ILb1EEvP15HIP_vector_typeIfLj4EEm
; %bb.0:
	s_load_b128 s[0:3], s[0:1], 0x0
	v_mov_b32_e32 v1, 0
	s_wait_kmcnt 0x0
	s_delay_alu instid0(VALU_DEP_1)
	v_cmp_gt_u64_e32 vcc_lo, s[2:3], v[0:1]
	s_and_saveexec_b32 s2, vcc_lo
	s_cbranch_execz .LBB6_2
; %bb.1:
	v_dual_mov_b32 v2, v1 :: v_dual_mov_b32 v3, v1
	v_dual_mov_b32 v4, v1 :: v_dual_mov_b32 v5, v1
	global_store_b128 v0, v[2:5], s[0:1] scale_offset
.LBB6_2:
	s_endpgm
	.section	.rodata,"a",@progbits
	.p2align	6, 0x0
	.amdhsa_kernel _Z23cvt_float4_fp8x4_float4ILb1EEvP15HIP_vector_typeIfLj4EEm
		.amdhsa_group_segment_fixed_size 0
		.amdhsa_private_segment_fixed_size 0
		.amdhsa_kernarg_size 16
		.amdhsa_user_sgpr_count 2
		.amdhsa_user_sgpr_dispatch_ptr 0
		.amdhsa_user_sgpr_queue_ptr 0
		.amdhsa_user_sgpr_kernarg_segment_ptr 1
		.amdhsa_user_sgpr_dispatch_id 0
		.amdhsa_user_sgpr_kernarg_preload_length 0
		.amdhsa_user_sgpr_kernarg_preload_offset 0
		.amdhsa_user_sgpr_private_segment_size 0
		.amdhsa_wavefront_size32 1
		.amdhsa_uses_dynamic_stack 0
		.amdhsa_enable_private_segment 0
		.amdhsa_system_sgpr_workgroup_id_x 1
		.amdhsa_system_sgpr_workgroup_id_y 0
		.amdhsa_system_sgpr_workgroup_id_z 0
		.amdhsa_system_sgpr_workgroup_info 0
		.amdhsa_system_vgpr_workitem_id 0
		.amdhsa_next_free_vgpr 6
		.amdhsa_next_free_sgpr 4
		.amdhsa_named_barrier_count 0
		.amdhsa_reserve_vcc 1
		.amdhsa_float_round_mode_32 0
		.amdhsa_float_round_mode_16_64 0
		.amdhsa_float_denorm_mode_32 3
		.amdhsa_float_denorm_mode_16_64 3
		.amdhsa_fp16_overflow 0
		.amdhsa_memory_ordered 1
		.amdhsa_forward_progress 1
		.amdhsa_inst_pref_size 1
		.amdhsa_round_robin_scheduling 0
		.amdhsa_exception_fp_ieee_invalid_op 0
		.amdhsa_exception_fp_denorm_src 0
		.amdhsa_exception_fp_ieee_div_zero 0
		.amdhsa_exception_fp_ieee_overflow 0
		.amdhsa_exception_fp_ieee_underflow 0
		.amdhsa_exception_fp_ieee_inexact 0
		.amdhsa_exception_int_div_zero 0
	.end_amdhsa_kernel
	.section	.text._Z23cvt_float4_fp8x4_float4ILb1EEvP15HIP_vector_typeIfLj4EEm,"axG",@progbits,_Z23cvt_float4_fp8x4_float4ILb1EEvP15HIP_vector_typeIfLj4EEm,comdat
.Lfunc_end6:
	.size	_Z23cvt_float4_fp8x4_float4ILb1EEvP15HIP_vector_typeIfLj4EEm, .Lfunc_end6-_Z23cvt_float4_fp8x4_float4ILb1EEvP15HIP_vector_typeIfLj4EEm
                                        ; -- End function
	.set _Z23cvt_float4_fp8x4_float4ILb1EEvP15HIP_vector_typeIfLj4EEm.num_vgpr, 6
	.set _Z23cvt_float4_fp8x4_float4ILb1EEvP15HIP_vector_typeIfLj4EEm.num_agpr, 0
	.set _Z23cvt_float4_fp8x4_float4ILb1EEvP15HIP_vector_typeIfLj4EEm.numbered_sgpr, 4
	.set _Z23cvt_float4_fp8x4_float4ILb1EEvP15HIP_vector_typeIfLj4EEm.num_named_barrier, 0
	.set _Z23cvt_float4_fp8x4_float4ILb1EEvP15HIP_vector_typeIfLj4EEm.private_seg_size, 0
	.set _Z23cvt_float4_fp8x4_float4ILb1EEvP15HIP_vector_typeIfLj4EEm.uses_vcc, 1
	.set _Z23cvt_float4_fp8x4_float4ILb1EEvP15HIP_vector_typeIfLj4EEm.uses_flat_scratch, 0
	.set _Z23cvt_float4_fp8x4_float4ILb1EEvP15HIP_vector_typeIfLj4EEm.has_dyn_sized_stack, 0
	.set _Z23cvt_float4_fp8x4_float4ILb1EEvP15HIP_vector_typeIfLj4EEm.has_recursion, 0
	.set _Z23cvt_float4_fp8x4_float4ILb1EEvP15HIP_vector_typeIfLj4EEm.has_indirect_call, 0
	.section	.AMDGPU.csdata,"",@progbits
; Kernel info:
; codeLenInByte = 64
; TotalNumSgprs: 6
; NumVgprs: 6
; ScratchSize: 0
; MemoryBound: 0
; FloatMode: 240
; IeeeMode: 1
; LDSByteSize: 0 bytes/workgroup (compile time only)
; SGPRBlocks: 0
; VGPRBlocks: 0
; NumSGPRsForWavesPerEU: 6
; NumVGPRsForWavesPerEU: 6
; NamedBarCnt: 0
; Occupancy: 16
; WaveLimiterHint : 0
; COMPUTE_PGM_RSRC2:SCRATCH_EN: 0
; COMPUTE_PGM_RSRC2:USER_SGPR: 2
; COMPUTE_PGM_RSRC2:TRAP_HANDLER: 0
; COMPUTE_PGM_RSRC2:TGID_X_EN: 1
; COMPUTE_PGM_RSRC2:TGID_Y_EN: 0
; COMPUTE_PGM_RSRC2:TGID_Z_EN: 0
; COMPUTE_PGM_RSRC2:TIDIG_COMP_CNT: 0
	.section	.text._Z23cvt_float4_fp8x4_float4ILb0EEvP15HIP_vector_typeIfLj4EEm,"axG",@progbits,_Z23cvt_float4_fp8x4_float4ILb0EEvP15HIP_vector_typeIfLj4EEm,comdat
	.protected	_Z23cvt_float4_fp8x4_float4ILb0EEvP15HIP_vector_typeIfLj4EEm ; -- Begin function _Z23cvt_float4_fp8x4_float4ILb0EEvP15HIP_vector_typeIfLj4EEm
	.globl	_Z23cvt_float4_fp8x4_float4ILb0EEvP15HIP_vector_typeIfLj4EEm
	.p2align	8
	.type	_Z23cvt_float4_fp8x4_float4ILb0EEvP15HIP_vector_typeIfLj4EEm,@function
_Z23cvt_float4_fp8x4_float4ILb0EEvP15HIP_vector_typeIfLj4EEm: ; @_Z23cvt_float4_fp8x4_float4ILb0EEvP15HIP_vector_typeIfLj4EEm
; %bb.0:
	s_load_b128 s[0:3], s[0:1], 0x0
	v_mov_b32_e32 v1, 0
	s_wait_kmcnt 0x0
	s_delay_alu instid0(VALU_DEP_1)
	v_cmp_gt_u64_e32 vcc_lo, s[2:3], v[0:1]
	s_and_saveexec_b32 s2, vcc_lo
	s_cbranch_execz .LBB7_2
; %bb.1:
	v_dual_mov_b32 v2, v1 :: v_dual_mov_b32 v3, v1
	v_dual_mov_b32 v4, v1 :: v_dual_mov_b32 v5, v1
	global_store_b128 v0, v[2:5], s[0:1] scale_offset
.LBB7_2:
	s_endpgm
	.section	.rodata,"a",@progbits
	.p2align	6, 0x0
	.amdhsa_kernel _Z23cvt_float4_fp8x4_float4ILb0EEvP15HIP_vector_typeIfLj4EEm
		.amdhsa_group_segment_fixed_size 0
		.amdhsa_private_segment_fixed_size 0
		.amdhsa_kernarg_size 16
		.amdhsa_user_sgpr_count 2
		.amdhsa_user_sgpr_dispatch_ptr 0
		.amdhsa_user_sgpr_queue_ptr 0
		.amdhsa_user_sgpr_kernarg_segment_ptr 1
		.amdhsa_user_sgpr_dispatch_id 0
		.amdhsa_user_sgpr_kernarg_preload_length 0
		.amdhsa_user_sgpr_kernarg_preload_offset 0
		.amdhsa_user_sgpr_private_segment_size 0
		.amdhsa_wavefront_size32 1
		.amdhsa_uses_dynamic_stack 0
		.amdhsa_enable_private_segment 0
		.amdhsa_system_sgpr_workgroup_id_x 1
		.amdhsa_system_sgpr_workgroup_id_y 0
		.amdhsa_system_sgpr_workgroup_id_z 0
		.amdhsa_system_sgpr_workgroup_info 0
		.amdhsa_system_vgpr_workitem_id 0
		.amdhsa_next_free_vgpr 6
		.amdhsa_next_free_sgpr 4
		.amdhsa_named_barrier_count 0
		.amdhsa_reserve_vcc 1
		.amdhsa_float_round_mode_32 0
		.amdhsa_float_round_mode_16_64 0
		.amdhsa_float_denorm_mode_32 3
		.amdhsa_float_denorm_mode_16_64 3
		.amdhsa_fp16_overflow 0
		.amdhsa_memory_ordered 1
		.amdhsa_forward_progress 1
		.amdhsa_inst_pref_size 1
		.amdhsa_round_robin_scheduling 0
		.amdhsa_exception_fp_ieee_invalid_op 0
		.amdhsa_exception_fp_denorm_src 0
		.amdhsa_exception_fp_ieee_div_zero 0
		.amdhsa_exception_fp_ieee_overflow 0
		.amdhsa_exception_fp_ieee_underflow 0
		.amdhsa_exception_fp_ieee_inexact 0
		.amdhsa_exception_int_div_zero 0
	.end_amdhsa_kernel
	.section	.text._Z23cvt_float4_fp8x4_float4ILb0EEvP15HIP_vector_typeIfLj4EEm,"axG",@progbits,_Z23cvt_float4_fp8x4_float4ILb0EEvP15HIP_vector_typeIfLj4EEm,comdat
.Lfunc_end7:
	.size	_Z23cvt_float4_fp8x4_float4ILb0EEvP15HIP_vector_typeIfLj4EEm, .Lfunc_end7-_Z23cvt_float4_fp8x4_float4ILb0EEvP15HIP_vector_typeIfLj4EEm
                                        ; -- End function
	.set _Z23cvt_float4_fp8x4_float4ILb0EEvP15HIP_vector_typeIfLj4EEm.num_vgpr, 6
	.set _Z23cvt_float4_fp8x4_float4ILb0EEvP15HIP_vector_typeIfLj4EEm.num_agpr, 0
	.set _Z23cvt_float4_fp8x4_float4ILb0EEvP15HIP_vector_typeIfLj4EEm.numbered_sgpr, 4
	.set _Z23cvt_float4_fp8x4_float4ILb0EEvP15HIP_vector_typeIfLj4EEm.num_named_barrier, 0
	.set _Z23cvt_float4_fp8x4_float4ILb0EEvP15HIP_vector_typeIfLj4EEm.private_seg_size, 0
	.set _Z23cvt_float4_fp8x4_float4ILb0EEvP15HIP_vector_typeIfLj4EEm.uses_vcc, 1
	.set _Z23cvt_float4_fp8x4_float4ILb0EEvP15HIP_vector_typeIfLj4EEm.uses_flat_scratch, 0
	.set _Z23cvt_float4_fp8x4_float4ILb0EEvP15HIP_vector_typeIfLj4EEm.has_dyn_sized_stack, 0
	.set _Z23cvt_float4_fp8x4_float4ILb0EEvP15HIP_vector_typeIfLj4EEm.has_recursion, 0
	.set _Z23cvt_float4_fp8x4_float4ILb0EEvP15HIP_vector_typeIfLj4EEm.has_indirect_call, 0
	.section	.AMDGPU.csdata,"",@progbits
; Kernel info:
; codeLenInByte = 64
; TotalNumSgprs: 6
; NumVgprs: 6
; ScratchSize: 0
; MemoryBound: 0
; FloatMode: 240
; IeeeMode: 1
; LDSByteSize: 0 bytes/workgroup (compile time only)
; SGPRBlocks: 0
; VGPRBlocks: 0
; NumSGPRsForWavesPerEU: 6
; NumVGPRsForWavesPerEU: 6
; NamedBarCnt: 0
; Occupancy: 16
; WaveLimiterHint : 0
; COMPUTE_PGM_RSRC2:SCRATCH_EN: 0
; COMPUTE_PGM_RSRC2:USER_SGPR: 2
; COMPUTE_PGM_RSRC2:TRAP_HANDLER: 0
; COMPUTE_PGM_RSRC2:TGID_X_EN: 1
; COMPUTE_PGM_RSRC2:TGID_Y_EN: 0
; COMPUTE_PGM_RSRC2:TGID_Z_EN: 0
; COMPUTE_PGM_RSRC2:TIDIG_COMP_CNT: 0
	.section	.text._Z10fp8_2_boolILb1EEvPfPbm,"axG",@progbits,_Z10fp8_2_boolILb1EEvPfPbm,comdat
	.protected	_Z10fp8_2_boolILb1EEvPfPbm ; -- Begin function _Z10fp8_2_boolILb1EEvPfPbm
	.globl	_Z10fp8_2_boolILb1EEvPfPbm
	.p2align	8
	.type	_Z10fp8_2_boolILb1EEvPfPbm,@function
_Z10fp8_2_boolILb1EEvPfPbm:             ; @_Z10fp8_2_boolILb1EEvPfPbm
; %bb.0:
	s_load_b64 s[2:3], s[0:1], 0x10
	v_mov_b32_e32 v1, 0
	s_wait_kmcnt 0x0
	s_delay_alu instid0(VALU_DEP_1)
	v_cmp_gt_u64_e32 vcc_lo, s[2:3], v[0:1]
	s_and_saveexec_b32 s2, vcc_lo
	s_cbranch_execz .LBB8_2
; %bb.1:
	s_load_b128 s[0:3], s[0:1], 0x0
	s_wait_kmcnt 0x0
	global_load_b32 v2, v0, s[0:1] scale_offset
	s_wait_xcnt 0x0
	v_add_nc_u64_e32 v[0:1], s[2:3], v[0:1]
	s_wait_loadcnt 0x0
	v_cmp_eq_f32_e32 vcc_lo, 0, v2
	v_cndmask_b32_e64 v2, 0, 1, vcc_lo
	global_store_b8 v[0:1], v2, off
.LBB8_2:
	s_endpgm
	.section	.rodata,"a",@progbits
	.p2align	6, 0x0
	.amdhsa_kernel _Z10fp8_2_boolILb1EEvPfPbm
		.amdhsa_group_segment_fixed_size 0
		.amdhsa_private_segment_fixed_size 0
		.amdhsa_kernarg_size 24
		.amdhsa_user_sgpr_count 2
		.amdhsa_user_sgpr_dispatch_ptr 0
		.amdhsa_user_sgpr_queue_ptr 0
		.amdhsa_user_sgpr_kernarg_segment_ptr 1
		.amdhsa_user_sgpr_dispatch_id 0
		.amdhsa_user_sgpr_kernarg_preload_length 0
		.amdhsa_user_sgpr_kernarg_preload_offset 0
		.amdhsa_user_sgpr_private_segment_size 0
		.amdhsa_wavefront_size32 1
		.amdhsa_uses_dynamic_stack 0
		.amdhsa_enable_private_segment 0
		.amdhsa_system_sgpr_workgroup_id_x 1
		.amdhsa_system_sgpr_workgroup_id_y 0
		.amdhsa_system_sgpr_workgroup_id_z 0
		.amdhsa_system_sgpr_workgroup_info 0
		.amdhsa_system_vgpr_workitem_id 0
		.amdhsa_next_free_vgpr 3
		.amdhsa_next_free_sgpr 4
		.amdhsa_named_barrier_count 0
		.amdhsa_reserve_vcc 1
		.amdhsa_float_round_mode_32 0
		.amdhsa_float_round_mode_16_64 0
		.amdhsa_float_denorm_mode_32 3
		.amdhsa_float_denorm_mode_16_64 3
		.amdhsa_fp16_overflow 0
		.amdhsa_memory_ordered 1
		.amdhsa_forward_progress 1
		.amdhsa_inst_pref_size 1
		.amdhsa_round_robin_scheduling 0
		.amdhsa_exception_fp_ieee_invalid_op 0
		.amdhsa_exception_fp_denorm_src 0
		.amdhsa_exception_fp_ieee_div_zero 0
		.amdhsa_exception_fp_ieee_overflow 0
		.amdhsa_exception_fp_ieee_underflow 0
		.amdhsa_exception_fp_ieee_inexact 0
		.amdhsa_exception_int_div_zero 0
	.end_amdhsa_kernel
	.section	.text._Z10fp8_2_boolILb1EEvPfPbm,"axG",@progbits,_Z10fp8_2_boolILb1EEvPfPbm,comdat
.Lfunc_end8:
	.size	_Z10fp8_2_boolILb1EEvPfPbm, .Lfunc_end8-_Z10fp8_2_boolILb1EEvPfPbm
                                        ; -- End function
	.set _Z10fp8_2_boolILb1EEvPfPbm.num_vgpr, 3
	.set _Z10fp8_2_boolILb1EEvPfPbm.num_agpr, 0
	.set _Z10fp8_2_boolILb1EEvPfPbm.numbered_sgpr, 4
	.set _Z10fp8_2_boolILb1EEvPfPbm.num_named_barrier, 0
	.set _Z10fp8_2_boolILb1EEvPfPbm.private_seg_size, 0
	.set _Z10fp8_2_boolILb1EEvPfPbm.uses_vcc, 1
	.set _Z10fp8_2_boolILb1EEvPfPbm.uses_flat_scratch, 0
	.set _Z10fp8_2_boolILb1EEvPfPbm.has_dyn_sized_stack, 0
	.set _Z10fp8_2_boolILb1EEvPfPbm.has_recursion, 0
	.set _Z10fp8_2_boolILb1EEvPfPbm.has_indirect_call, 0
	.section	.AMDGPU.csdata,"",@progbits
; Kernel info:
; codeLenInByte = 96
; TotalNumSgprs: 6
; NumVgprs: 3
; ScratchSize: 0
; MemoryBound: 0
; FloatMode: 240
; IeeeMode: 1
; LDSByteSize: 0 bytes/workgroup (compile time only)
; SGPRBlocks: 0
; VGPRBlocks: 0
; NumSGPRsForWavesPerEU: 6
; NumVGPRsForWavesPerEU: 3
; NamedBarCnt: 0
; Occupancy: 16
; WaveLimiterHint : 0
; COMPUTE_PGM_RSRC2:SCRATCH_EN: 0
; COMPUTE_PGM_RSRC2:USER_SGPR: 2
; COMPUTE_PGM_RSRC2:TRAP_HANDLER: 0
; COMPUTE_PGM_RSRC2:TGID_X_EN: 1
; COMPUTE_PGM_RSRC2:TGID_Y_EN: 0
; COMPUTE_PGM_RSRC2:TGID_Z_EN: 0
; COMPUTE_PGM_RSRC2:TIDIG_COMP_CNT: 0
	.section	.text._Z10fp8_2_boolILb0EEvPfPbm,"axG",@progbits,_Z10fp8_2_boolILb0EEvPfPbm,comdat
	.protected	_Z10fp8_2_boolILb0EEvPfPbm ; -- Begin function _Z10fp8_2_boolILb0EEvPfPbm
	.globl	_Z10fp8_2_boolILb0EEvPfPbm
	.p2align	8
	.type	_Z10fp8_2_boolILb0EEvPfPbm,@function
_Z10fp8_2_boolILb0EEvPfPbm:             ; @_Z10fp8_2_boolILb0EEvPfPbm
; %bb.0:
	s_load_b64 s[2:3], s[0:1], 0x10
	v_mov_b32_e32 v1, 0
	s_wait_kmcnt 0x0
	s_delay_alu instid0(VALU_DEP_1)
	v_cmp_gt_u64_e32 vcc_lo, s[2:3], v[0:1]
	s_and_saveexec_b32 s2, vcc_lo
	s_cbranch_execz .LBB9_2
; %bb.1:
	s_load_b128 s[0:3], s[0:1], 0x0
	s_wait_kmcnt 0x0
	global_load_b32 v2, v0, s[0:1] scale_offset
	s_wait_xcnt 0x0
	v_add_nc_u64_e32 v[0:1], s[2:3], v[0:1]
	s_wait_loadcnt 0x0
	v_cmp_eq_f32_e32 vcc_lo, 0, v2
	v_cndmask_b32_e64 v2, 0, 1, vcc_lo
	global_store_b8 v[0:1], v2, off
.LBB9_2:
	s_endpgm
	.section	.rodata,"a",@progbits
	.p2align	6, 0x0
	.amdhsa_kernel _Z10fp8_2_boolILb0EEvPfPbm
		.amdhsa_group_segment_fixed_size 0
		.amdhsa_private_segment_fixed_size 0
		.amdhsa_kernarg_size 24
		.amdhsa_user_sgpr_count 2
		.amdhsa_user_sgpr_dispatch_ptr 0
		.amdhsa_user_sgpr_queue_ptr 0
		.amdhsa_user_sgpr_kernarg_segment_ptr 1
		.amdhsa_user_sgpr_dispatch_id 0
		.amdhsa_user_sgpr_kernarg_preload_length 0
		.amdhsa_user_sgpr_kernarg_preload_offset 0
		.amdhsa_user_sgpr_private_segment_size 0
		.amdhsa_wavefront_size32 1
		.amdhsa_uses_dynamic_stack 0
		.amdhsa_enable_private_segment 0
		.amdhsa_system_sgpr_workgroup_id_x 1
		.amdhsa_system_sgpr_workgroup_id_y 0
		.amdhsa_system_sgpr_workgroup_id_z 0
		.amdhsa_system_sgpr_workgroup_info 0
		.amdhsa_system_vgpr_workitem_id 0
		.amdhsa_next_free_vgpr 3
		.amdhsa_next_free_sgpr 4
		.amdhsa_named_barrier_count 0
		.amdhsa_reserve_vcc 1
		.amdhsa_float_round_mode_32 0
		.amdhsa_float_round_mode_16_64 0
		.amdhsa_float_denorm_mode_32 3
		.amdhsa_float_denorm_mode_16_64 3
		.amdhsa_fp16_overflow 0
		.amdhsa_memory_ordered 1
		.amdhsa_forward_progress 1
		.amdhsa_inst_pref_size 1
		.amdhsa_round_robin_scheduling 0
		.amdhsa_exception_fp_ieee_invalid_op 0
		.amdhsa_exception_fp_denorm_src 0
		.amdhsa_exception_fp_ieee_div_zero 0
		.amdhsa_exception_fp_ieee_overflow 0
		.amdhsa_exception_fp_ieee_underflow 0
		.amdhsa_exception_fp_ieee_inexact 0
		.amdhsa_exception_int_div_zero 0
	.end_amdhsa_kernel
	.section	.text._Z10fp8_2_boolILb0EEvPfPbm,"axG",@progbits,_Z10fp8_2_boolILb0EEvPfPbm,comdat
.Lfunc_end9:
	.size	_Z10fp8_2_boolILb0EEvPfPbm, .Lfunc_end9-_Z10fp8_2_boolILb0EEvPfPbm
                                        ; -- End function
	.set _Z10fp8_2_boolILb0EEvPfPbm.num_vgpr, 3
	.set _Z10fp8_2_boolILb0EEvPfPbm.num_agpr, 0
	.set _Z10fp8_2_boolILb0EEvPfPbm.numbered_sgpr, 4
	.set _Z10fp8_2_boolILb0EEvPfPbm.num_named_barrier, 0
	.set _Z10fp8_2_boolILb0EEvPfPbm.private_seg_size, 0
	.set _Z10fp8_2_boolILb0EEvPfPbm.uses_vcc, 1
	.set _Z10fp8_2_boolILb0EEvPfPbm.uses_flat_scratch, 0
	.set _Z10fp8_2_boolILb0EEvPfPbm.has_dyn_sized_stack, 0
	.set _Z10fp8_2_boolILb0EEvPfPbm.has_recursion, 0
	.set _Z10fp8_2_boolILb0EEvPfPbm.has_indirect_call, 0
	.section	.AMDGPU.csdata,"",@progbits
; Kernel info:
; codeLenInByte = 96
; TotalNumSgprs: 6
; NumVgprs: 3
; ScratchSize: 0
; MemoryBound: 0
; FloatMode: 240
; IeeeMode: 1
; LDSByteSize: 0 bytes/workgroup (compile time only)
; SGPRBlocks: 0
; VGPRBlocks: 0
; NumSGPRsForWavesPerEU: 6
; NumVGPRsForWavesPerEU: 3
; NamedBarCnt: 0
; Occupancy: 16
; WaveLimiterHint : 0
; COMPUTE_PGM_RSRC2:SCRATCH_EN: 0
; COMPUTE_PGM_RSRC2:USER_SGPR: 2
; COMPUTE_PGM_RSRC2:TRAP_HANDLER: 0
; COMPUTE_PGM_RSRC2:TGID_X_EN: 1
; COMPUTE_PGM_RSRC2:TGID_Y_EN: 0
; COMPUTE_PGM_RSRC2:TGID_Z_EN: 0
; COMPUTE_PGM_RSRC2:TIDIG_COMP_CNT: 0
	.section	.text._Z11Type_to_fp8ILb1EEvPfPhm,"axG",@progbits,_Z11Type_to_fp8ILb1EEvPfPhm,comdat
	.protected	_Z11Type_to_fp8ILb1EEvPfPhm ; -- Begin function _Z11Type_to_fp8ILb1EEvPfPhm
	.globl	_Z11Type_to_fp8ILb1EEvPfPhm
	.p2align	8
	.type	_Z11Type_to_fp8ILb1EEvPfPhm,@function
_Z11Type_to_fp8ILb1EEvPfPhm:            ; @_Z11Type_to_fp8ILb1EEvPfPhm
; %bb.0:
	s_clause 0x1
	s_load_b32 s4, s[0:1], 0x24
	s_load_b64 s[2:3], s[0:1], 0x10
	s_bfe_u32 s5, ttmp6, 0x4000c
	s_and_b32 s6, ttmp6, 15
	s_add_co_i32 s5, s5, 1
	s_getreg_b32 s7, hwreg(HW_REG_IB_STS2, 6, 4)
	s_mul_i32 s5, ttmp9, s5
	v_mov_b32_e32 v1, 0
	s_add_co_i32 s6, s6, s5
	s_wait_kmcnt 0x0
	s_and_b32 s4, s4, 0xffff
	s_cmp_eq_u32 s7, 0
	s_cselect_b32 s5, ttmp9, s6
	s_delay_alu instid0(SALU_CYCLE_1) | instskip(NEXT) | instid1(VALU_DEP_1)
	v_mad_u32 v0, s5, s4, v0
	v_cmp_gt_u64_e32 vcc_lo, s[2:3], v[0:1]
	s_and_saveexec_b32 s2, vcc_lo
	s_cbranch_execz .LBB10_2
; %bb.1:
	s_load_b128 s[0:3], s[0:1], 0x0
	s_wait_kmcnt 0x0
	v_lshl_add_u64 v[2:3], v[0:1], 2, s[0:1]
	v_add_nc_u64_e32 v[0:1], s[2:3], v[0:1]
	global_load_b32 v2, v[2:3], off
	s_wait_loadcnt 0x0
	v_cmp_eq_f32_e32 vcc_lo, 0, v2
	v_cndmask_b32_e64 v2, 0x7f, 0, vcc_lo
	global_store_b8 v[0:1], v2, off
.LBB10_2:
	s_endpgm
	.section	.rodata,"a",@progbits
	.p2align	6, 0x0
	.amdhsa_kernel _Z11Type_to_fp8ILb1EEvPfPhm
		.amdhsa_group_segment_fixed_size 0
		.amdhsa_private_segment_fixed_size 0
		.amdhsa_kernarg_size 280
		.amdhsa_user_sgpr_count 2
		.amdhsa_user_sgpr_dispatch_ptr 0
		.amdhsa_user_sgpr_queue_ptr 0
		.amdhsa_user_sgpr_kernarg_segment_ptr 1
		.amdhsa_user_sgpr_dispatch_id 0
		.amdhsa_user_sgpr_kernarg_preload_length 0
		.amdhsa_user_sgpr_kernarg_preload_offset 0
		.amdhsa_user_sgpr_private_segment_size 0
		.amdhsa_wavefront_size32 1
		.amdhsa_uses_dynamic_stack 0
		.amdhsa_enable_private_segment 0
		.amdhsa_system_sgpr_workgroup_id_x 1
		.amdhsa_system_sgpr_workgroup_id_y 0
		.amdhsa_system_sgpr_workgroup_id_z 0
		.amdhsa_system_sgpr_workgroup_info 0
		.amdhsa_system_vgpr_workitem_id 0
		.amdhsa_next_free_vgpr 4
		.amdhsa_next_free_sgpr 8
		.amdhsa_named_barrier_count 0
		.amdhsa_reserve_vcc 1
		.amdhsa_float_round_mode_32 0
		.amdhsa_float_round_mode_16_64 0
		.amdhsa_float_denorm_mode_32 3
		.amdhsa_float_denorm_mode_16_64 3
		.amdhsa_fp16_overflow 0
		.amdhsa_memory_ordered 1
		.amdhsa_forward_progress 1
		.amdhsa_inst_pref_size 2
		.amdhsa_round_robin_scheduling 0
		.amdhsa_exception_fp_ieee_invalid_op 0
		.amdhsa_exception_fp_denorm_src 0
		.amdhsa_exception_fp_ieee_div_zero 0
		.amdhsa_exception_fp_ieee_overflow 0
		.amdhsa_exception_fp_ieee_underflow 0
		.amdhsa_exception_fp_ieee_inexact 0
		.amdhsa_exception_int_div_zero 0
	.end_amdhsa_kernel
	.section	.text._Z11Type_to_fp8ILb1EEvPfPhm,"axG",@progbits,_Z11Type_to_fp8ILb1EEvPfPhm,comdat
.Lfunc_end10:
	.size	_Z11Type_to_fp8ILb1EEvPfPhm, .Lfunc_end10-_Z11Type_to_fp8ILb1EEvPfPhm
                                        ; -- End function
	.set _Z11Type_to_fp8ILb1EEvPfPhm.num_vgpr, 4
	.set _Z11Type_to_fp8ILb1EEvPfPhm.num_agpr, 0
	.set _Z11Type_to_fp8ILb1EEvPfPhm.numbered_sgpr, 8
	.set _Z11Type_to_fp8ILb1EEvPfPhm.num_named_barrier, 0
	.set _Z11Type_to_fp8ILb1EEvPfPhm.private_seg_size, 0
	.set _Z11Type_to_fp8ILb1EEvPfPhm.uses_vcc, 1
	.set _Z11Type_to_fp8ILb1EEvPfPhm.uses_flat_scratch, 0
	.set _Z11Type_to_fp8ILb1EEvPfPhm.has_dyn_sized_stack, 0
	.set _Z11Type_to_fp8ILb1EEvPfPhm.has_recursion, 0
	.set _Z11Type_to_fp8ILb1EEvPfPhm.has_indirect_call, 0
	.section	.AMDGPU.csdata,"",@progbits
; Kernel info:
; codeLenInByte = 168
; TotalNumSgprs: 10
; NumVgprs: 4
; ScratchSize: 0
; MemoryBound: 0
; FloatMode: 240
; IeeeMode: 1
; LDSByteSize: 0 bytes/workgroup (compile time only)
; SGPRBlocks: 0
; VGPRBlocks: 0
; NumSGPRsForWavesPerEU: 10
; NumVGPRsForWavesPerEU: 4
; NamedBarCnt: 0
; Occupancy: 16
; WaveLimiterHint : 0
; COMPUTE_PGM_RSRC2:SCRATCH_EN: 0
; COMPUTE_PGM_RSRC2:USER_SGPR: 2
; COMPUTE_PGM_RSRC2:TRAP_HANDLER: 0
; COMPUTE_PGM_RSRC2:TGID_X_EN: 1
; COMPUTE_PGM_RSRC2:TGID_Y_EN: 0
; COMPUTE_PGM_RSRC2:TGID_Z_EN: 0
; COMPUTE_PGM_RSRC2:TIDIG_COMP_CNT: 0
	.section	.text._Z11Type_to_fp8ILb0EEvPfPhm,"axG",@progbits,_Z11Type_to_fp8ILb0EEvPfPhm,comdat
	.protected	_Z11Type_to_fp8ILb0EEvPfPhm ; -- Begin function _Z11Type_to_fp8ILb0EEvPfPhm
	.globl	_Z11Type_to_fp8ILb0EEvPfPhm
	.p2align	8
	.type	_Z11Type_to_fp8ILb0EEvPfPhm,@function
_Z11Type_to_fp8ILb0EEvPfPhm:            ; @_Z11Type_to_fp8ILb0EEvPfPhm
; %bb.0:
	s_clause 0x1
	s_load_b32 s4, s[0:1], 0x24
	s_load_b64 s[2:3], s[0:1], 0x10
	s_bfe_u32 s5, ttmp6, 0x4000c
	s_and_b32 s6, ttmp6, 15
	s_add_co_i32 s5, s5, 1
	s_getreg_b32 s7, hwreg(HW_REG_IB_STS2, 6, 4)
	s_mul_i32 s5, ttmp9, s5
	v_mov_b32_e32 v1, 0
	s_add_co_i32 s6, s6, s5
	s_wait_kmcnt 0x0
	s_and_b32 s4, s4, 0xffff
	s_cmp_eq_u32 s7, 0
	s_cselect_b32 s5, ttmp9, s6
	s_delay_alu instid0(SALU_CYCLE_1) | instskip(NEXT) | instid1(VALU_DEP_1)
	v_mad_u32 v0, s5, s4, v0
	v_cmp_gt_u64_e32 vcc_lo, s[2:3], v[0:1]
	s_and_saveexec_b32 s2, vcc_lo
	s_cbranch_execz .LBB11_2
; %bb.1:
	s_load_b128 s[0:3], s[0:1], 0x0
	s_wait_kmcnt 0x0
	v_lshl_add_u64 v[2:3], v[0:1], 2, s[0:1]
	v_add_nc_u64_e32 v[0:1], s[2:3], v[0:1]
	global_load_b32 v2, v[2:3], off
	s_wait_loadcnt 0x0
	v_cmp_eq_f32_e32 vcc_lo, 0, v2
	v_cndmask_b32_e64 v2, 0x7f, 0, vcc_lo
	global_store_b8 v[0:1], v2, off
.LBB11_2:
	s_endpgm
	.section	.rodata,"a",@progbits
	.p2align	6, 0x0
	.amdhsa_kernel _Z11Type_to_fp8ILb0EEvPfPhm
		.amdhsa_group_segment_fixed_size 0
		.amdhsa_private_segment_fixed_size 0
		.amdhsa_kernarg_size 280
		.amdhsa_user_sgpr_count 2
		.amdhsa_user_sgpr_dispatch_ptr 0
		.amdhsa_user_sgpr_queue_ptr 0
		.amdhsa_user_sgpr_kernarg_segment_ptr 1
		.amdhsa_user_sgpr_dispatch_id 0
		.amdhsa_user_sgpr_kernarg_preload_length 0
		.amdhsa_user_sgpr_kernarg_preload_offset 0
		.amdhsa_user_sgpr_private_segment_size 0
		.amdhsa_wavefront_size32 1
		.amdhsa_uses_dynamic_stack 0
		.amdhsa_enable_private_segment 0
		.amdhsa_system_sgpr_workgroup_id_x 1
		.amdhsa_system_sgpr_workgroup_id_y 0
		.amdhsa_system_sgpr_workgroup_id_z 0
		.amdhsa_system_sgpr_workgroup_info 0
		.amdhsa_system_vgpr_workitem_id 0
		.amdhsa_next_free_vgpr 4
		.amdhsa_next_free_sgpr 8
		.amdhsa_named_barrier_count 0
		.amdhsa_reserve_vcc 1
		.amdhsa_float_round_mode_32 0
		.amdhsa_float_round_mode_16_64 0
		.amdhsa_float_denorm_mode_32 3
		.amdhsa_float_denorm_mode_16_64 3
		.amdhsa_fp16_overflow 0
		.amdhsa_memory_ordered 1
		.amdhsa_forward_progress 1
		.amdhsa_inst_pref_size 2
		.amdhsa_round_robin_scheduling 0
		.amdhsa_exception_fp_ieee_invalid_op 0
		.amdhsa_exception_fp_denorm_src 0
		.amdhsa_exception_fp_ieee_div_zero 0
		.amdhsa_exception_fp_ieee_overflow 0
		.amdhsa_exception_fp_ieee_underflow 0
		.amdhsa_exception_fp_ieee_inexact 0
		.amdhsa_exception_int_div_zero 0
	.end_amdhsa_kernel
	.section	.text._Z11Type_to_fp8ILb0EEvPfPhm,"axG",@progbits,_Z11Type_to_fp8ILb0EEvPfPhm,comdat
.Lfunc_end11:
	.size	_Z11Type_to_fp8ILb0EEvPfPhm, .Lfunc_end11-_Z11Type_to_fp8ILb0EEvPfPhm
                                        ; -- End function
	.set _Z11Type_to_fp8ILb0EEvPfPhm.num_vgpr, 4
	.set _Z11Type_to_fp8ILb0EEvPfPhm.num_agpr, 0
	.set _Z11Type_to_fp8ILb0EEvPfPhm.numbered_sgpr, 8
	.set _Z11Type_to_fp8ILb0EEvPfPhm.num_named_barrier, 0
	.set _Z11Type_to_fp8ILb0EEvPfPhm.private_seg_size, 0
	.set _Z11Type_to_fp8ILb0EEvPfPhm.uses_vcc, 1
	.set _Z11Type_to_fp8ILb0EEvPfPhm.uses_flat_scratch, 0
	.set _Z11Type_to_fp8ILb0EEvPfPhm.has_dyn_sized_stack, 0
	.set _Z11Type_to_fp8ILb0EEvPfPhm.has_recursion, 0
	.set _Z11Type_to_fp8ILb0EEvPfPhm.has_indirect_call, 0
	.section	.AMDGPU.csdata,"",@progbits
; Kernel info:
; codeLenInByte = 168
; TotalNumSgprs: 10
; NumVgprs: 4
; ScratchSize: 0
; MemoryBound: 0
; FloatMode: 240
; IeeeMode: 1
; LDSByteSize: 0 bytes/workgroup (compile time only)
; SGPRBlocks: 0
; VGPRBlocks: 0
; NumSGPRsForWavesPerEU: 10
; NumVGPRsForWavesPerEU: 4
; NamedBarCnt: 0
; Occupancy: 16
; WaveLimiterHint : 0
; COMPUTE_PGM_RSRC2:SCRATCH_EN: 0
; COMPUTE_PGM_RSRC2:USER_SGPR: 2
; COMPUTE_PGM_RSRC2:TRAP_HANDLER: 0
; COMPUTE_PGM_RSRC2:TGID_X_EN: 1
; COMPUTE_PGM_RSRC2:TGID_Y_EN: 0
; COMPUTE_PGM_RSRC2:TGID_Z_EN: 0
; COMPUTE_PGM_RSRC2:TIDIG_COMP_CNT: 0
	.section	.text._Z15Type_to_fp8_cvtIfLb1EEvPT_PfS2_m,"axG",@progbits,_Z15Type_to_fp8_cvtIfLb1EEvPT_PfS2_m,comdat
	.protected	_Z15Type_to_fp8_cvtIfLb1EEvPT_PfS2_m ; -- Begin function _Z15Type_to_fp8_cvtIfLb1EEvPT_PfS2_m
	.globl	_Z15Type_to_fp8_cvtIfLb1EEvPT_PfS2_m
	.p2align	8
	.type	_Z15Type_to_fp8_cvtIfLb1EEvPT_PfS2_m,@function
_Z15Type_to_fp8_cvtIfLb1EEvPT_PfS2_m:   ; @_Z15Type_to_fp8_cvtIfLb1EEvPT_PfS2_m
; %bb.0:
	s_load_b32 s2, s[0:1], 0x2c
	s_bfe_u32 s12, ttmp6, 0x4000c
	s_load_b256 s[4:11], s[0:1], 0x0
	s_add_co_i32 s12, s12, 1
	s_and_b32 s3, ttmp6, 15
	s_wait_xcnt 0x0
	s_mul_i32 s1, ttmp9, s12
	s_getreg_b32 s0, hwreg(HW_REG_IB_STS2, 6, 4)
	s_add_co_i32 s3, s3, s1
	v_mov_b32_e32 v1, 0
	s_wait_kmcnt 0x0
	s_and_b32 s2, s2, 0xffff
	s_cmp_eq_u32 s0, 0
	s_cselect_b32 s0, ttmp9, s3
	s_delay_alu instid0(SALU_CYCLE_1) | instskip(SKIP_1) | instid1(VALU_DEP_1)
	v_mad_u32 v0, s0, s2, v0
	s_mov_b32 s0, exec_lo
	v_cmpx_gt_u64_e64 s[10:11], v[0:1]
	s_cbranch_execz .LBB12_2
; %bb.1:
	v_lshlrev_b64_e32 v[0:1], 2, v[0:1]
	s_delay_alu instid0(VALU_DEP_1)
	v_add_nc_u64_e32 v[2:3], s[4:5], v[0:1]
	global_load_b32 v4, v[2:3], off
	s_wait_xcnt 0x0
	v_add_nc_u64_e32 v[2:3], s[6:7], v[0:1]
	v_add_nc_u64_e32 v[0:1], s[8:9], v[0:1]
	s_wait_loadcnt 0x0
	v_cmp_neq_f32_e32 vcc_lo, 0, v4
	v_cndmask_b32_e32 v4, 0, v4, vcc_lo
	global_store_b32 v[2:3], v4, off
	global_store_b32 v[0:1], v4, off
.LBB12_2:
	s_endpgm
	.section	.rodata,"a",@progbits
	.p2align	6, 0x0
	.amdhsa_kernel _Z15Type_to_fp8_cvtIfLb1EEvPT_PfS2_m
		.amdhsa_group_segment_fixed_size 0
		.amdhsa_private_segment_fixed_size 0
		.amdhsa_kernarg_size 288
		.amdhsa_user_sgpr_count 2
		.amdhsa_user_sgpr_dispatch_ptr 0
		.amdhsa_user_sgpr_queue_ptr 0
		.amdhsa_user_sgpr_kernarg_segment_ptr 1
		.amdhsa_user_sgpr_dispatch_id 0
		.amdhsa_user_sgpr_kernarg_preload_length 0
		.amdhsa_user_sgpr_kernarg_preload_offset 0
		.amdhsa_user_sgpr_private_segment_size 0
		.amdhsa_wavefront_size32 1
		.amdhsa_uses_dynamic_stack 0
		.amdhsa_enable_private_segment 0
		.amdhsa_system_sgpr_workgroup_id_x 1
		.amdhsa_system_sgpr_workgroup_id_y 0
		.amdhsa_system_sgpr_workgroup_id_z 0
		.amdhsa_system_sgpr_workgroup_info 0
		.amdhsa_system_vgpr_workitem_id 0
		.amdhsa_next_free_vgpr 5
		.amdhsa_next_free_sgpr 13
		.amdhsa_named_barrier_count 0
		.amdhsa_reserve_vcc 1
		.amdhsa_float_round_mode_32 0
		.amdhsa_float_round_mode_16_64 0
		.amdhsa_float_denorm_mode_32 3
		.amdhsa_float_denorm_mode_16_64 3
		.amdhsa_fp16_overflow 0
		.amdhsa_memory_ordered 1
		.amdhsa_forward_progress 1
		.amdhsa_inst_pref_size 2
		.amdhsa_round_robin_scheduling 0
		.amdhsa_exception_fp_ieee_invalid_op 0
		.amdhsa_exception_fp_denorm_src 0
		.amdhsa_exception_fp_ieee_div_zero 0
		.amdhsa_exception_fp_ieee_overflow 0
		.amdhsa_exception_fp_ieee_underflow 0
		.amdhsa_exception_fp_ieee_inexact 0
		.amdhsa_exception_int_div_zero 0
	.end_amdhsa_kernel
	.section	.text._Z15Type_to_fp8_cvtIfLb1EEvPT_PfS2_m,"axG",@progbits,_Z15Type_to_fp8_cvtIfLb1EEvPT_PfS2_m,comdat
.Lfunc_end12:
	.size	_Z15Type_to_fp8_cvtIfLb1EEvPT_PfS2_m, .Lfunc_end12-_Z15Type_to_fp8_cvtIfLb1EEvPT_PfS2_m
                                        ; -- End function
	.set _Z15Type_to_fp8_cvtIfLb1EEvPT_PfS2_m.num_vgpr, 5
	.set _Z15Type_to_fp8_cvtIfLb1EEvPT_PfS2_m.num_agpr, 0
	.set _Z15Type_to_fp8_cvtIfLb1EEvPT_PfS2_m.numbered_sgpr, 13
	.set _Z15Type_to_fp8_cvtIfLb1EEvPT_PfS2_m.num_named_barrier, 0
	.set _Z15Type_to_fp8_cvtIfLb1EEvPT_PfS2_m.private_seg_size, 0
	.set _Z15Type_to_fp8_cvtIfLb1EEvPT_PfS2_m.uses_vcc, 1
	.set _Z15Type_to_fp8_cvtIfLb1EEvPT_PfS2_m.uses_flat_scratch, 0
	.set _Z15Type_to_fp8_cvtIfLb1EEvPT_PfS2_m.has_dyn_sized_stack, 0
	.set _Z15Type_to_fp8_cvtIfLb1EEvPT_PfS2_m.has_recursion, 0
	.set _Z15Type_to_fp8_cvtIfLb1EEvPT_PfS2_m.has_indirect_call, 0
	.section	.AMDGPU.csdata,"",@progbits
; Kernel info:
; codeLenInByte = 176
; TotalNumSgprs: 15
; NumVgprs: 5
; ScratchSize: 0
; MemoryBound: 0
; FloatMode: 240
; IeeeMode: 1
; LDSByteSize: 0 bytes/workgroup (compile time only)
; SGPRBlocks: 0
; VGPRBlocks: 0
; NumSGPRsForWavesPerEU: 15
; NumVGPRsForWavesPerEU: 5
; NamedBarCnt: 0
; Occupancy: 16
; WaveLimiterHint : 0
; COMPUTE_PGM_RSRC2:SCRATCH_EN: 0
; COMPUTE_PGM_RSRC2:USER_SGPR: 2
; COMPUTE_PGM_RSRC2:TRAP_HANDLER: 0
; COMPUTE_PGM_RSRC2:TGID_X_EN: 1
; COMPUTE_PGM_RSRC2:TGID_Y_EN: 0
; COMPUTE_PGM_RSRC2:TGID_Z_EN: 0
; COMPUTE_PGM_RSRC2:TIDIG_COMP_CNT: 0
	.section	.text._Z15Type_to_fp8_cvtIfLb0EEvPT_PfS2_m,"axG",@progbits,_Z15Type_to_fp8_cvtIfLb0EEvPT_PfS2_m,comdat
	.protected	_Z15Type_to_fp8_cvtIfLb0EEvPT_PfS2_m ; -- Begin function _Z15Type_to_fp8_cvtIfLb0EEvPT_PfS2_m
	.globl	_Z15Type_to_fp8_cvtIfLb0EEvPT_PfS2_m
	.p2align	8
	.type	_Z15Type_to_fp8_cvtIfLb0EEvPT_PfS2_m,@function
_Z15Type_to_fp8_cvtIfLb0EEvPT_PfS2_m:   ; @_Z15Type_to_fp8_cvtIfLb0EEvPT_PfS2_m
; %bb.0:
	s_load_b32 s2, s[0:1], 0x2c
	s_bfe_u32 s12, ttmp6, 0x4000c
	s_load_b256 s[4:11], s[0:1], 0x0
	s_add_co_i32 s12, s12, 1
	s_and_b32 s3, ttmp6, 15
	s_wait_xcnt 0x0
	s_mul_i32 s1, ttmp9, s12
	s_getreg_b32 s0, hwreg(HW_REG_IB_STS2, 6, 4)
	s_add_co_i32 s3, s3, s1
	v_mov_b32_e32 v1, 0
	s_wait_kmcnt 0x0
	s_and_b32 s2, s2, 0xffff
	s_cmp_eq_u32 s0, 0
	s_cselect_b32 s0, ttmp9, s3
	s_delay_alu instid0(SALU_CYCLE_1) | instskip(SKIP_1) | instid1(VALU_DEP_1)
	v_mad_u32 v0, s0, s2, v0
	s_mov_b32 s0, exec_lo
	v_cmpx_gt_u64_e64 s[10:11], v[0:1]
	s_cbranch_execz .LBB13_2
; %bb.1:
	v_lshlrev_b64_e32 v[0:1], 2, v[0:1]
	s_delay_alu instid0(VALU_DEP_1)
	v_add_nc_u64_e32 v[2:3], s[4:5], v[0:1]
	global_load_b32 v4, v[2:3], off
	s_wait_xcnt 0x0
	v_add_nc_u64_e32 v[2:3], s[6:7], v[0:1]
	v_add_nc_u64_e32 v[0:1], s[8:9], v[0:1]
	s_wait_loadcnt 0x0
	v_cmp_neq_f32_e32 vcc_lo, 0, v4
	v_cndmask_b32_e32 v4, 0, v4, vcc_lo
	global_store_b32 v[2:3], v4, off
	global_store_b32 v[0:1], v4, off
.LBB13_2:
	s_endpgm
	.section	.rodata,"a",@progbits
	.p2align	6, 0x0
	.amdhsa_kernel _Z15Type_to_fp8_cvtIfLb0EEvPT_PfS2_m
		.amdhsa_group_segment_fixed_size 0
		.amdhsa_private_segment_fixed_size 0
		.amdhsa_kernarg_size 288
		.amdhsa_user_sgpr_count 2
		.amdhsa_user_sgpr_dispatch_ptr 0
		.amdhsa_user_sgpr_queue_ptr 0
		.amdhsa_user_sgpr_kernarg_segment_ptr 1
		.amdhsa_user_sgpr_dispatch_id 0
		.amdhsa_user_sgpr_kernarg_preload_length 0
		.amdhsa_user_sgpr_kernarg_preload_offset 0
		.amdhsa_user_sgpr_private_segment_size 0
		.amdhsa_wavefront_size32 1
		.amdhsa_uses_dynamic_stack 0
		.amdhsa_enable_private_segment 0
		.amdhsa_system_sgpr_workgroup_id_x 1
		.amdhsa_system_sgpr_workgroup_id_y 0
		.amdhsa_system_sgpr_workgroup_id_z 0
		.amdhsa_system_sgpr_workgroup_info 0
		.amdhsa_system_vgpr_workitem_id 0
		.amdhsa_next_free_vgpr 5
		.amdhsa_next_free_sgpr 13
		.amdhsa_named_barrier_count 0
		.amdhsa_reserve_vcc 1
		.amdhsa_float_round_mode_32 0
		.amdhsa_float_round_mode_16_64 0
		.amdhsa_float_denorm_mode_32 3
		.amdhsa_float_denorm_mode_16_64 3
		.amdhsa_fp16_overflow 0
		.amdhsa_memory_ordered 1
		.amdhsa_forward_progress 1
		.amdhsa_inst_pref_size 2
		.amdhsa_round_robin_scheduling 0
		.amdhsa_exception_fp_ieee_invalid_op 0
		.amdhsa_exception_fp_denorm_src 0
		.amdhsa_exception_fp_ieee_div_zero 0
		.amdhsa_exception_fp_ieee_overflow 0
		.amdhsa_exception_fp_ieee_underflow 0
		.amdhsa_exception_fp_ieee_inexact 0
		.amdhsa_exception_int_div_zero 0
	.end_amdhsa_kernel
	.section	.text._Z15Type_to_fp8_cvtIfLb0EEvPT_PfS2_m,"axG",@progbits,_Z15Type_to_fp8_cvtIfLb0EEvPT_PfS2_m,comdat
.Lfunc_end13:
	.size	_Z15Type_to_fp8_cvtIfLb0EEvPT_PfS2_m, .Lfunc_end13-_Z15Type_to_fp8_cvtIfLb0EEvPT_PfS2_m
                                        ; -- End function
	.set _Z15Type_to_fp8_cvtIfLb0EEvPT_PfS2_m.num_vgpr, 5
	.set _Z15Type_to_fp8_cvtIfLb0EEvPT_PfS2_m.num_agpr, 0
	.set _Z15Type_to_fp8_cvtIfLb0EEvPT_PfS2_m.numbered_sgpr, 13
	.set _Z15Type_to_fp8_cvtIfLb0EEvPT_PfS2_m.num_named_barrier, 0
	.set _Z15Type_to_fp8_cvtIfLb0EEvPT_PfS2_m.private_seg_size, 0
	.set _Z15Type_to_fp8_cvtIfLb0EEvPT_PfS2_m.uses_vcc, 1
	.set _Z15Type_to_fp8_cvtIfLb0EEvPT_PfS2_m.uses_flat_scratch, 0
	.set _Z15Type_to_fp8_cvtIfLb0EEvPT_PfS2_m.has_dyn_sized_stack, 0
	.set _Z15Type_to_fp8_cvtIfLb0EEvPT_PfS2_m.has_recursion, 0
	.set _Z15Type_to_fp8_cvtIfLb0EEvPT_PfS2_m.has_indirect_call, 0
	.section	.AMDGPU.csdata,"",@progbits
; Kernel info:
; codeLenInByte = 176
; TotalNumSgprs: 15
; NumVgprs: 5
; ScratchSize: 0
; MemoryBound: 0
; FloatMode: 240
; IeeeMode: 1
; LDSByteSize: 0 bytes/workgroup (compile time only)
; SGPRBlocks: 0
; VGPRBlocks: 0
; NumSGPRsForWavesPerEU: 15
; NumVGPRsForWavesPerEU: 5
; NamedBarCnt: 0
; Occupancy: 16
; WaveLimiterHint : 0
; COMPUTE_PGM_RSRC2:SCRATCH_EN: 0
; COMPUTE_PGM_RSRC2:USER_SGPR: 2
; COMPUTE_PGM_RSRC2:TRAP_HANDLER: 0
; COMPUTE_PGM_RSRC2:TGID_X_EN: 1
; COMPUTE_PGM_RSRC2:TGID_Y_EN: 0
; COMPUTE_PGM_RSRC2:TGID_Z_EN: 0
; COMPUTE_PGM_RSRC2:TIDIG_COMP_CNT: 0
	.section	.text._Z15Type_to_fp8_cvtIdLb1EEvPT_PfS2_m,"axG",@progbits,_Z15Type_to_fp8_cvtIdLb1EEvPT_PfS2_m,comdat
	.protected	_Z15Type_to_fp8_cvtIdLb1EEvPT_PfS2_m ; -- Begin function _Z15Type_to_fp8_cvtIdLb1EEvPT_PfS2_m
	.globl	_Z15Type_to_fp8_cvtIdLb1EEvPT_PfS2_m
	.p2align	8
	.type	_Z15Type_to_fp8_cvtIdLb1EEvPT_PfS2_m,@function
_Z15Type_to_fp8_cvtIdLb1EEvPT_PfS2_m:   ; @_Z15Type_to_fp8_cvtIdLb1EEvPT_PfS2_m
; %bb.0:
	s_load_b32 s2, s[0:1], 0x2c
	s_bfe_u32 s12, ttmp6, 0x4000c
	s_load_b256 s[4:11], s[0:1], 0x0
	s_add_co_i32 s12, s12, 1
	s_and_b32 s3, ttmp6, 15
	s_wait_xcnt 0x0
	s_mul_i32 s1, ttmp9, s12
	s_getreg_b32 s0, hwreg(HW_REG_IB_STS2, 6, 4)
	s_add_co_i32 s3, s3, s1
	v_mov_b32_e32 v1, 0
	s_wait_kmcnt 0x0
	s_and_b32 s2, s2, 0xffff
	s_cmp_eq_u32 s0, 0
	s_cselect_b32 s0, ttmp9, s3
	s_delay_alu instid0(SALU_CYCLE_1) | instskip(SKIP_1) | instid1(VALU_DEP_1)
	v_mad_u32 v0, s0, s2, v0
	s_mov_b32 s0, exec_lo
	v_cmpx_gt_u64_e64 s[10:11], v[0:1]
	s_cbranch_execz .LBB14_2
; %bb.1:
	v_lshl_add_u64 v[2:3], v[0:1], 3, s[4:5]
	v_lshlrev_b64_e32 v[0:1], 2, v[0:1]
	global_load_b64 v[2:3], v[2:3], off
	s_wait_loadcnt 0x0
	v_cmp_neq_f64_e32 vcc_lo, 0, v[2:3]
	v_dual_cndmask_b32 v3, 0, v3 :: v_dual_cndmask_b32 v2, 0, v2
	s_delay_alu instid0(VALU_DEP_1)
	v_cvt_f32_f64_e32 v4, v[2:3]
	v_add_nc_u64_e32 v[2:3], s[6:7], v[0:1]
	v_add_nc_u64_e32 v[0:1], s[8:9], v[0:1]
	global_store_b32 v[2:3], v4, off
	global_store_b32 v[0:1], v4, off
.LBB14_2:
	s_endpgm
	.section	.rodata,"a",@progbits
	.p2align	6, 0x0
	.amdhsa_kernel _Z15Type_to_fp8_cvtIdLb1EEvPT_PfS2_m
		.amdhsa_group_segment_fixed_size 0
		.amdhsa_private_segment_fixed_size 0
		.amdhsa_kernarg_size 288
		.amdhsa_user_sgpr_count 2
		.amdhsa_user_sgpr_dispatch_ptr 0
		.amdhsa_user_sgpr_queue_ptr 0
		.amdhsa_user_sgpr_kernarg_segment_ptr 1
		.amdhsa_user_sgpr_dispatch_id 0
		.amdhsa_user_sgpr_kernarg_preload_length 0
		.amdhsa_user_sgpr_kernarg_preload_offset 0
		.amdhsa_user_sgpr_private_segment_size 0
		.amdhsa_wavefront_size32 1
		.amdhsa_uses_dynamic_stack 0
		.amdhsa_enable_private_segment 0
		.amdhsa_system_sgpr_workgroup_id_x 1
		.amdhsa_system_sgpr_workgroup_id_y 0
		.amdhsa_system_sgpr_workgroup_id_z 0
		.amdhsa_system_sgpr_workgroup_info 0
		.amdhsa_system_vgpr_workitem_id 0
		.amdhsa_next_free_vgpr 5
		.amdhsa_next_free_sgpr 13
		.amdhsa_named_barrier_count 0
		.amdhsa_reserve_vcc 1
		.amdhsa_float_round_mode_32 0
		.amdhsa_float_round_mode_16_64 0
		.amdhsa_float_denorm_mode_32 3
		.amdhsa_float_denorm_mode_16_64 3
		.amdhsa_fp16_overflow 0
		.amdhsa_memory_ordered 1
		.amdhsa_forward_progress 1
		.amdhsa_inst_pref_size 2
		.amdhsa_round_robin_scheduling 0
		.amdhsa_exception_fp_ieee_invalid_op 0
		.amdhsa_exception_fp_denorm_src 0
		.amdhsa_exception_fp_ieee_div_zero 0
		.amdhsa_exception_fp_ieee_overflow 0
		.amdhsa_exception_fp_ieee_underflow 0
		.amdhsa_exception_fp_ieee_inexact 0
		.amdhsa_exception_int_div_zero 0
	.end_amdhsa_kernel
	.section	.text._Z15Type_to_fp8_cvtIdLb1EEvPT_PfS2_m,"axG",@progbits,_Z15Type_to_fp8_cvtIdLb1EEvPT_PfS2_m,comdat
.Lfunc_end14:
	.size	_Z15Type_to_fp8_cvtIdLb1EEvPT_PfS2_m, .Lfunc_end14-_Z15Type_to_fp8_cvtIdLb1EEvPT_PfS2_m
                                        ; -- End function
	.set _Z15Type_to_fp8_cvtIdLb1EEvPT_PfS2_m.num_vgpr, 5
	.set _Z15Type_to_fp8_cvtIdLb1EEvPT_PfS2_m.num_agpr, 0
	.set _Z15Type_to_fp8_cvtIdLb1EEvPT_PfS2_m.numbered_sgpr, 13
	.set _Z15Type_to_fp8_cvtIdLb1EEvPT_PfS2_m.num_named_barrier, 0
	.set _Z15Type_to_fp8_cvtIdLb1EEvPT_PfS2_m.private_seg_size, 0
	.set _Z15Type_to_fp8_cvtIdLb1EEvPT_PfS2_m.uses_vcc, 1
	.set _Z15Type_to_fp8_cvtIdLb1EEvPT_PfS2_m.uses_flat_scratch, 0
	.set _Z15Type_to_fp8_cvtIdLb1EEvPT_PfS2_m.has_dyn_sized_stack, 0
	.set _Z15Type_to_fp8_cvtIdLb1EEvPT_PfS2_m.has_recursion, 0
	.set _Z15Type_to_fp8_cvtIdLb1EEvPT_PfS2_m.has_indirect_call, 0
	.section	.AMDGPU.csdata,"",@progbits
; Kernel info:
; codeLenInByte = 184
; TotalNumSgprs: 15
; NumVgprs: 5
; ScratchSize: 0
; MemoryBound: 0
; FloatMode: 240
; IeeeMode: 1
; LDSByteSize: 0 bytes/workgroup (compile time only)
; SGPRBlocks: 0
; VGPRBlocks: 0
; NumSGPRsForWavesPerEU: 15
; NumVGPRsForWavesPerEU: 5
; NamedBarCnt: 0
; Occupancy: 16
; WaveLimiterHint : 0
; COMPUTE_PGM_RSRC2:SCRATCH_EN: 0
; COMPUTE_PGM_RSRC2:USER_SGPR: 2
; COMPUTE_PGM_RSRC2:TRAP_HANDLER: 0
; COMPUTE_PGM_RSRC2:TGID_X_EN: 1
; COMPUTE_PGM_RSRC2:TGID_Y_EN: 0
; COMPUTE_PGM_RSRC2:TGID_Z_EN: 0
; COMPUTE_PGM_RSRC2:TIDIG_COMP_CNT: 0
	.section	.text._Z15Type_to_fp8_cvtIdLb0EEvPT_PfS2_m,"axG",@progbits,_Z15Type_to_fp8_cvtIdLb0EEvPT_PfS2_m,comdat
	.protected	_Z15Type_to_fp8_cvtIdLb0EEvPT_PfS2_m ; -- Begin function _Z15Type_to_fp8_cvtIdLb0EEvPT_PfS2_m
	.globl	_Z15Type_to_fp8_cvtIdLb0EEvPT_PfS2_m
	.p2align	8
	.type	_Z15Type_to_fp8_cvtIdLb0EEvPT_PfS2_m,@function
_Z15Type_to_fp8_cvtIdLb0EEvPT_PfS2_m:   ; @_Z15Type_to_fp8_cvtIdLb0EEvPT_PfS2_m
; %bb.0:
	s_load_b32 s2, s[0:1], 0x2c
	s_bfe_u32 s12, ttmp6, 0x4000c
	s_load_b256 s[4:11], s[0:1], 0x0
	s_add_co_i32 s12, s12, 1
	s_and_b32 s3, ttmp6, 15
	s_wait_xcnt 0x0
	s_mul_i32 s1, ttmp9, s12
	s_getreg_b32 s0, hwreg(HW_REG_IB_STS2, 6, 4)
	s_add_co_i32 s3, s3, s1
	v_mov_b32_e32 v1, 0
	s_wait_kmcnt 0x0
	s_and_b32 s2, s2, 0xffff
	s_cmp_eq_u32 s0, 0
	s_cselect_b32 s0, ttmp9, s3
	s_delay_alu instid0(SALU_CYCLE_1) | instskip(SKIP_1) | instid1(VALU_DEP_1)
	v_mad_u32 v0, s0, s2, v0
	s_mov_b32 s0, exec_lo
	v_cmpx_gt_u64_e64 s[10:11], v[0:1]
	s_cbranch_execz .LBB15_2
; %bb.1:
	v_lshl_add_u64 v[2:3], v[0:1], 3, s[4:5]
	v_lshlrev_b64_e32 v[0:1], 2, v[0:1]
	global_load_b64 v[2:3], v[2:3], off
	s_wait_loadcnt 0x0
	v_cmp_neq_f64_e32 vcc_lo, 0, v[2:3]
	v_dual_cndmask_b32 v3, 0, v3 :: v_dual_cndmask_b32 v2, 0, v2
	s_delay_alu instid0(VALU_DEP_1)
	v_cvt_f32_f64_e32 v4, v[2:3]
	v_add_nc_u64_e32 v[2:3], s[6:7], v[0:1]
	v_add_nc_u64_e32 v[0:1], s[8:9], v[0:1]
	global_store_b32 v[2:3], v4, off
	global_store_b32 v[0:1], v4, off
.LBB15_2:
	s_endpgm
	.section	.rodata,"a",@progbits
	.p2align	6, 0x0
	.amdhsa_kernel _Z15Type_to_fp8_cvtIdLb0EEvPT_PfS2_m
		.amdhsa_group_segment_fixed_size 0
		.amdhsa_private_segment_fixed_size 0
		.amdhsa_kernarg_size 288
		.amdhsa_user_sgpr_count 2
		.amdhsa_user_sgpr_dispatch_ptr 0
		.amdhsa_user_sgpr_queue_ptr 0
		.amdhsa_user_sgpr_kernarg_segment_ptr 1
		.amdhsa_user_sgpr_dispatch_id 0
		.amdhsa_user_sgpr_kernarg_preload_length 0
		.amdhsa_user_sgpr_kernarg_preload_offset 0
		.amdhsa_user_sgpr_private_segment_size 0
		.amdhsa_wavefront_size32 1
		.amdhsa_uses_dynamic_stack 0
		.amdhsa_enable_private_segment 0
		.amdhsa_system_sgpr_workgroup_id_x 1
		.amdhsa_system_sgpr_workgroup_id_y 0
		.amdhsa_system_sgpr_workgroup_id_z 0
		.amdhsa_system_sgpr_workgroup_info 0
		.amdhsa_system_vgpr_workitem_id 0
		.amdhsa_next_free_vgpr 5
		.amdhsa_next_free_sgpr 13
		.amdhsa_named_barrier_count 0
		.amdhsa_reserve_vcc 1
		.amdhsa_float_round_mode_32 0
		.amdhsa_float_round_mode_16_64 0
		.amdhsa_float_denorm_mode_32 3
		.amdhsa_float_denorm_mode_16_64 3
		.amdhsa_fp16_overflow 0
		.amdhsa_memory_ordered 1
		.amdhsa_forward_progress 1
		.amdhsa_inst_pref_size 2
		.amdhsa_round_robin_scheduling 0
		.amdhsa_exception_fp_ieee_invalid_op 0
		.amdhsa_exception_fp_denorm_src 0
		.amdhsa_exception_fp_ieee_div_zero 0
		.amdhsa_exception_fp_ieee_overflow 0
		.amdhsa_exception_fp_ieee_underflow 0
		.amdhsa_exception_fp_ieee_inexact 0
		.amdhsa_exception_int_div_zero 0
	.end_amdhsa_kernel
	.section	.text._Z15Type_to_fp8_cvtIdLb0EEvPT_PfS2_m,"axG",@progbits,_Z15Type_to_fp8_cvtIdLb0EEvPT_PfS2_m,comdat
.Lfunc_end15:
	.size	_Z15Type_to_fp8_cvtIdLb0EEvPT_PfS2_m, .Lfunc_end15-_Z15Type_to_fp8_cvtIdLb0EEvPT_PfS2_m
                                        ; -- End function
	.set _Z15Type_to_fp8_cvtIdLb0EEvPT_PfS2_m.num_vgpr, 5
	.set _Z15Type_to_fp8_cvtIdLb0EEvPT_PfS2_m.num_agpr, 0
	.set _Z15Type_to_fp8_cvtIdLb0EEvPT_PfS2_m.numbered_sgpr, 13
	.set _Z15Type_to_fp8_cvtIdLb0EEvPT_PfS2_m.num_named_barrier, 0
	.set _Z15Type_to_fp8_cvtIdLb0EEvPT_PfS2_m.private_seg_size, 0
	.set _Z15Type_to_fp8_cvtIdLb0EEvPT_PfS2_m.uses_vcc, 1
	.set _Z15Type_to_fp8_cvtIdLb0EEvPT_PfS2_m.uses_flat_scratch, 0
	.set _Z15Type_to_fp8_cvtIdLb0EEvPT_PfS2_m.has_dyn_sized_stack, 0
	.set _Z15Type_to_fp8_cvtIdLb0EEvPT_PfS2_m.has_recursion, 0
	.set _Z15Type_to_fp8_cvtIdLb0EEvPT_PfS2_m.has_indirect_call, 0
	.section	.AMDGPU.csdata,"",@progbits
; Kernel info:
; codeLenInByte = 184
; TotalNumSgprs: 15
; NumVgprs: 5
; ScratchSize: 0
; MemoryBound: 0
; FloatMode: 240
; IeeeMode: 1
; LDSByteSize: 0 bytes/workgroup (compile time only)
; SGPRBlocks: 0
; VGPRBlocks: 0
; NumSGPRsForWavesPerEU: 15
; NumVGPRsForWavesPerEU: 5
; NamedBarCnt: 0
; Occupancy: 16
; WaveLimiterHint : 0
; COMPUTE_PGM_RSRC2:SCRATCH_EN: 0
; COMPUTE_PGM_RSRC2:USER_SGPR: 2
; COMPUTE_PGM_RSRC2:TRAP_HANDLER: 0
; COMPUTE_PGM_RSRC2:TGID_X_EN: 1
; COMPUTE_PGM_RSRC2:TGID_Y_EN: 0
; COMPUTE_PGM_RSRC2:TGID_Z_EN: 0
; COMPUTE_PGM_RSRC2:TIDIG_COMP_CNT: 0
	.section	.AMDGPU.gpr_maximums,"",@progbits
	.set amdgpu.max_num_vgpr, 0
	.set amdgpu.max_num_agpr, 0
	.set amdgpu.max_num_sgpr, 0
	.section	.AMDGPU.csdata,"",@progbits
	.type	__hip_cuid_e50c6ad759f7452a,@object ; @__hip_cuid_e50c6ad759f7452a
	.section	.bss,"aw",@nobits
	.globl	__hip_cuid_e50c6ad759f7452a
__hip_cuid_e50c6ad759f7452a:
	.byte	0                               ; 0x0
	.size	__hip_cuid_e50c6ad759f7452a, 1

	.ident	"AMD clang version 22.0.0git (https://github.com/RadeonOpenCompute/llvm-project roc-7.2.4 26084 f58b06dce1f9c15707c5f808fd002e18c2accf7e)"
	.section	".note.GNU-stack","",@progbits
	.addrsig
	.addrsig_sym __hip_cuid_e50c6ad759f7452a
	.amdgpu_metadata
---
amdhsa.kernels:
  - .args:
      - .address_space:  global
        .offset:         0
        .size:           8
        .value_kind:     global_buffer
      - .offset:         8
        .size:           8
        .value_kind:     by_value
    .group_segment_fixed_size: 0
    .kernarg_segment_align: 8
    .kernarg_segment_size: 16
    .language:       OpenCL C
    .language_version:
      - 2
      - 0
    .max_flat_workgroup_size: 1024
    .name:           _Z19cvt_float_fp8_floatIfLb1EEvPT_m
    .private_segment_fixed_size: 0
    .sgpr_count:     6
    .sgpr_spill_count: 0
    .symbol:         _Z19cvt_float_fp8_floatIfLb1EEvPT_m.kd
    .uniform_work_group_size: 1
    .uses_dynamic_stack: false
    .vgpr_count:     2
    .vgpr_spill_count: 0
    .wavefront_size: 32
  - .args:
      - .address_space:  global
        .offset:         0
        .size:           8
        .value_kind:     global_buffer
      - .offset:         8
        .size:           8
        .value_kind:     by_value
    .group_segment_fixed_size: 0
    .kernarg_segment_align: 8
    .kernarg_segment_size: 16
    .language:       OpenCL C
    .language_version:
      - 2
      - 0
    .max_flat_workgroup_size: 1024
    .name:           _Z19cvt_float_fp8_floatIfLb0EEvPT_m
    .private_segment_fixed_size: 0
    .sgpr_count:     6
    .sgpr_spill_count: 0
    .symbol:         _Z19cvt_float_fp8_floatIfLb0EEvPT_m.kd
    .uniform_work_group_size: 1
    .uses_dynamic_stack: false
    .vgpr_count:     2
    .vgpr_spill_count: 0
    .wavefront_size: 32
  - .args:
      - .address_space:  global
        .offset:         0
        .size:           8
        .value_kind:     global_buffer
      - .offset:         8
        .size:           8
        .value_kind:     by_value
    .group_segment_fixed_size: 0
    .kernarg_segment_align: 8
    .kernarg_segment_size: 16
    .language:       OpenCL C
    .language_version:
      - 2
      - 0
    .max_flat_workgroup_size: 1024
    .name:           _Z19cvt_float_fp8_floatIdLb1EEvPT_m
    .private_segment_fixed_size: 0
    .sgpr_count:     6
    .sgpr_spill_count: 0
    .symbol:         _Z19cvt_float_fp8_floatIdLb1EEvPT_m.kd
    .uniform_work_group_size: 1
    .uses_dynamic_stack: false
    .vgpr_count:     4
    .vgpr_spill_count: 0
    .wavefront_size: 32
  - .args:
      - .address_space:  global
        .offset:         0
        .size:           8
        .value_kind:     global_buffer
      - .offset:         8
        .size:           8
        .value_kind:     by_value
    .group_segment_fixed_size: 0
    .kernarg_segment_align: 8
    .kernarg_segment_size: 16
    .language:       OpenCL C
    .language_version:
      - 2
      - 0
    .max_flat_workgroup_size: 1024
    .name:           _Z19cvt_float_fp8_floatIdLb0EEvPT_m
    .private_segment_fixed_size: 0
    .sgpr_count:     6
    .sgpr_spill_count: 0
    .symbol:         _Z19cvt_float_fp8_floatIdLb0EEvPT_m.kd
    .uniform_work_group_size: 1
    .uses_dynamic_stack: false
    .vgpr_count:     4
    .vgpr_spill_count: 0
    .wavefront_size: 32
  - .args:
      - .address_space:  global
        .offset:         0
        .size:           8
        .value_kind:     global_buffer
      - .offset:         8
        .size:           8
        .value_kind:     by_value
    .group_segment_fixed_size: 0
    .kernarg_segment_align: 8
    .kernarg_segment_size: 16
    .language:       OpenCL C
    .language_version:
      - 2
      - 0
    .max_flat_workgroup_size: 1024
    .name:           _Z23cvt_float2_fp8x2_float2ILb1EEvP15HIP_vector_typeIfLj2EEm
    .private_segment_fixed_size: 0
    .sgpr_count:     6
    .sgpr_spill_count: 0
    .symbol:         _Z23cvt_float2_fp8x2_float2ILb1EEvP15HIP_vector_typeIfLj2EEm.kd
    .uniform_work_group_size: 1
    .uses_dynamic_stack: false
    .vgpr_count:     4
    .vgpr_spill_count: 0
    .wavefront_size: 32
  - .args:
      - .address_space:  global
        .offset:         0
        .size:           8
        .value_kind:     global_buffer
      - .offset:         8
        .size:           8
        .value_kind:     by_value
    .group_segment_fixed_size: 0
    .kernarg_segment_align: 8
    .kernarg_segment_size: 16
    .language:       OpenCL C
    .language_version:
      - 2
      - 0
    .max_flat_workgroup_size: 1024
    .name:           _Z23cvt_float2_fp8x2_float2ILb0EEvP15HIP_vector_typeIfLj2EEm
    .private_segment_fixed_size: 0
    .sgpr_count:     6
    .sgpr_spill_count: 0
    .symbol:         _Z23cvt_float2_fp8x2_float2ILb0EEvP15HIP_vector_typeIfLj2EEm.kd
    .uniform_work_group_size: 1
    .uses_dynamic_stack: false
    .vgpr_count:     4
    .vgpr_spill_count: 0
    .wavefront_size: 32
  - .args:
      - .address_space:  global
        .offset:         0
        .size:           8
        .value_kind:     global_buffer
      - .offset:         8
        .size:           8
        .value_kind:     by_value
    .group_segment_fixed_size: 0
    .kernarg_segment_align: 8
    .kernarg_segment_size: 16
    .language:       OpenCL C
    .language_version:
      - 2
      - 0
    .max_flat_workgroup_size: 1024
    .name:           _Z23cvt_float4_fp8x4_float4ILb1EEvP15HIP_vector_typeIfLj4EEm
    .private_segment_fixed_size: 0
    .sgpr_count:     6
    .sgpr_spill_count: 0
    .symbol:         _Z23cvt_float4_fp8x4_float4ILb1EEvP15HIP_vector_typeIfLj4EEm.kd
    .uniform_work_group_size: 1
    .uses_dynamic_stack: false
    .vgpr_count:     6
    .vgpr_spill_count: 0
    .wavefront_size: 32
  - .args:
      - .address_space:  global
        .offset:         0
        .size:           8
        .value_kind:     global_buffer
      - .offset:         8
        .size:           8
        .value_kind:     by_value
    .group_segment_fixed_size: 0
    .kernarg_segment_align: 8
    .kernarg_segment_size: 16
    .language:       OpenCL C
    .language_version:
      - 2
      - 0
    .max_flat_workgroup_size: 1024
    .name:           _Z23cvt_float4_fp8x4_float4ILb0EEvP15HIP_vector_typeIfLj4EEm
    .private_segment_fixed_size: 0
    .sgpr_count:     6
    .sgpr_spill_count: 0
    .symbol:         _Z23cvt_float4_fp8x4_float4ILb0EEvP15HIP_vector_typeIfLj4EEm.kd
    .uniform_work_group_size: 1
    .uses_dynamic_stack: false
    .vgpr_count:     6
    .vgpr_spill_count: 0
    .wavefront_size: 32
  - .args:
      - .address_space:  global
        .offset:         0
        .size:           8
        .value_kind:     global_buffer
      - .address_space:  global
        .offset:         8
        .size:           8
        .value_kind:     global_buffer
      - .offset:         16
        .size:           8
        .value_kind:     by_value
    .group_segment_fixed_size: 0
    .kernarg_segment_align: 8
    .kernarg_segment_size: 24
    .language:       OpenCL C
    .language_version:
      - 2
      - 0
    .max_flat_workgroup_size: 1024
    .name:           _Z10fp8_2_boolILb1EEvPfPbm
    .private_segment_fixed_size: 0
    .sgpr_count:     6
    .sgpr_spill_count: 0
    .symbol:         _Z10fp8_2_boolILb1EEvPfPbm.kd
    .uniform_work_group_size: 1
    .uses_dynamic_stack: false
    .vgpr_count:     3
    .vgpr_spill_count: 0
    .wavefront_size: 32
  - .args:
      - .address_space:  global
        .offset:         0
        .size:           8
        .value_kind:     global_buffer
      - .address_space:  global
        .offset:         8
        .size:           8
        .value_kind:     global_buffer
      - .offset:         16
        .size:           8
        .value_kind:     by_value
    .group_segment_fixed_size: 0
    .kernarg_segment_align: 8
    .kernarg_segment_size: 24
    .language:       OpenCL C
    .language_version:
      - 2
      - 0
    .max_flat_workgroup_size: 1024
    .name:           _Z10fp8_2_boolILb0EEvPfPbm
    .private_segment_fixed_size: 0
    .sgpr_count:     6
    .sgpr_spill_count: 0
    .symbol:         _Z10fp8_2_boolILb0EEvPfPbm.kd
    .uniform_work_group_size: 1
    .uses_dynamic_stack: false
    .vgpr_count:     3
    .vgpr_spill_count: 0
    .wavefront_size: 32
  - .args:
      - .address_space:  global
        .offset:         0
        .size:           8
        .value_kind:     global_buffer
      - .address_space:  global
        .offset:         8
        .size:           8
        .value_kind:     global_buffer
      - .offset:         16
        .size:           8
        .value_kind:     by_value
      - .offset:         24
        .size:           4
        .value_kind:     hidden_block_count_x
      - .offset:         28
        .size:           4
        .value_kind:     hidden_block_count_y
      - .offset:         32
        .size:           4
        .value_kind:     hidden_block_count_z
      - .offset:         36
        .size:           2
        .value_kind:     hidden_group_size_x
      - .offset:         38
        .size:           2
        .value_kind:     hidden_group_size_y
      - .offset:         40
        .size:           2
        .value_kind:     hidden_group_size_z
      - .offset:         42
        .size:           2
        .value_kind:     hidden_remainder_x
      - .offset:         44
        .size:           2
        .value_kind:     hidden_remainder_y
      - .offset:         46
        .size:           2
        .value_kind:     hidden_remainder_z
      - .offset:         64
        .size:           8
        .value_kind:     hidden_global_offset_x
      - .offset:         72
        .size:           8
        .value_kind:     hidden_global_offset_y
      - .offset:         80
        .size:           8
        .value_kind:     hidden_global_offset_z
      - .offset:         88
        .size:           2
        .value_kind:     hidden_grid_dims
    .group_segment_fixed_size: 0
    .kernarg_segment_align: 8
    .kernarg_segment_size: 280
    .language:       OpenCL C
    .language_version:
      - 2
      - 0
    .max_flat_workgroup_size: 1024
    .name:           _Z11Type_to_fp8ILb1EEvPfPhm
    .private_segment_fixed_size: 0
    .sgpr_count:     10
    .sgpr_spill_count: 0
    .symbol:         _Z11Type_to_fp8ILb1EEvPfPhm.kd
    .uniform_work_group_size: 1
    .uses_dynamic_stack: false
    .vgpr_count:     4
    .vgpr_spill_count: 0
    .wavefront_size: 32
  - .args:
      - .address_space:  global
        .offset:         0
        .size:           8
        .value_kind:     global_buffer
      - .address_space:  global
        .offset:         8
        .size:           8
        .value_kind:     global_buffer
      - .offset:         16
        .size:           8
        .value_kind:     by_value
      - .offset:         24
        .size:           4
        .value_kind:     hidden_block_count_x
      - .offset:         28
        .size:           4
        .value_kind:     hidden_block_count_y
      - .offset:         32
        .size:           4
        .value_kind:     hidden_block_count_z
      - .offset:         36
        .size:           2
        .value_kind:     hidden_group_size_x
      - .offset:         38
        .size:           2
        .value_kind:     hidden_group_size_y
      - .offset:         40
        .size:           2
        .value_kind:     hidden_group_size_z
      - .offset:         42
        .size:           2
        .value_kind:     hidden_remainder_x
      - .offset:         44
        .size:           2
        .value_kind:     hidden_remainder_y
      - .offset:         46
        .size:           2
        .value_kind:     hidden_remainder_z
      - .offset:         64
        .size:           8
        .value_kind:     hidden_global_offset_x
      - .offset:         72
        .size:           8
        .value_kind:     hidden_global_offset_y
      - .offset:         80
        .size:           8
        .value_kind:     hidden_global_offset_z
      - .offset:         88
        .size:           2
        .value_kind:     hidden_grid_dims
    .group_segment_fixed_size: 0
    .kernarg_segment_align: 8
    .kernarg_segment_size: 280
    .language:       OpenCL C
    .language_version:
      - 2
      - 0
    .max_flat_workgroup_size: 1024
    .name:           _Z11Type_to_fp8ILb0EEvPfPhm
    .private_segment_fixed_size: 0
    .sgpr_count:     10
    .sgpr_spill_count: 0
    .symbol:         _Z11Type_to_fp8ILb0EEvPfPhm.kd
    .uniform_work_group_size: 1
    .uses_dynamic_stack: false
    .vgpr_count:     4
    .vgpr_spill_count: 0
    .wavefront_size: 32
  - .args:
      - .address_space:  global
        .offset:         0
        .size:           8
        .value_kind:     global_buffer
      - .address_space:  global
        .offset:         8
        .size:           8
        .value_kind:     global_buffer
      - .address_space:  global
        .offset:         16
        .size:           8
        .value_kind:     global_buffer
      - .offset:         24
        .size:           8
        .value_kind:     by_value
      - .offset:         32
        .size:           4
        .value_kind:     hidden_block_count_x
      - .offset:         36
        .size:           4
        .value_kind:     hidden_block_count_y
      - .offset:         40
        .size:           4
        .value_kind:     hidden_block_count_z
      - .offset:         44
        .size:           2
        .value_kind:     hidden_group_size_x
      - .offset:         46
        .size:           2
        .value_kind:     hidden_group_size_y
      - .offset:         48
        .size:           2
        .value_kind:     hidden_group_size_z
      - .offset:         50
        .size:           2
        .value_kind:     hidden_remainder_x
      - .offset:         52
        .size:           2
        .value_kind:     hidden_remainder_y
      - .offset:         54
        .size:           2
        .value_kind:     hidden_remainder_z
      - .offset:         72
        .size:           8
        .value_kind:     hidden_global_offset_x
      - .offset:         80
        .size:           8
        .value_kind:     hidden_global_offset_y
      - .offset:         88
        .size:           8
        .value_kind:     hidden_global_offset_z
      - .offset:         96
        .size:           2
        .value_kind:     hidden_grid_dims
    .group_segment_fixed_size: 0
    .kernarg_segment_align: 8
    .kernarg_segment_size: 288
    .language:       OpenCL C
    .language_version:
      - 2
      - 0
    .max_flat_workgroup_size: 1024
    .name:           _Z15Type_to_fp8_cvtIfLb1EEvPT_PfS2_m
    .private_segment_fixed_size: 0
    .sgpr_count:     15
    .sgpr_spill_count: 0
    .symbol:         _Z15Type_to_fp8_cvtIfLb1EEvPT_PfS2_m.kd
    .uniform_work_group_size: 1
    .uses_dynamic_stack: false
    .vgpr_count:     5
    .vgpr_spill_count: 0
    .wavefront_size: 32
  - .args:
      - .address_space:  global
        .offset:         0
        .size:           8
        .value_kind:     global_buffer
      - .address_space:  global
        .offset:         8
        .size:           8
        .value_kind:     global_buffer
      - .address_space:  global
        .offset:         16
        .size:           8
        .value_kind:     global_buffer
      - .offset:         24
        .size:           8
        .value_kind:     by_value
      - .offset:         32
        .size:           4
        .value_kind:     hidden_block_count_x
      - .offset:         36
        .size:           4
        .value_kind:     hidden_block_count_y
      - .offset:         40
        .size:           4
        .value_kind:     hidden_block_count_z
      - .offset:         44
        .size:           2
        .value_kind:     hidden_group_size_x
      - .offset:         46
        .size:           2
        .value_kind:     hidden_group_size_y
      - .offset:         48
        .size:           2
        .value_kind:     hidden_group_size_z
      - .offset:         50
        .size:           2
        .value_kind:     hidden_remainder_x
      - .offset:         52
        .size:           2
        .value_kind:     hidden_remainder_y
      - .offset:         54
        .size:           2
        .value_kind:     hidden_remainder_z
      - .offset:         72
        .size:           8
        .value_kind:     hidden_global_offset_x
      - .offset:         80
        .size:           8
        .value_kind:     hidden_global_offset_y
      - .offset:         88
        .size:           8
        .value_kind:     hidden_global_offset_z
      - .offset:         96
        .size:           2
        .value_kind:     hidden_grid_dims
    .group_segment_fixed_size: 0
    .kernarg_segment_align: 8
    .kernarg_segment_size: 288
    .language:       OpenCL C
    .language_version:
      - 2
      - 0
    .max_flat_workgroup_size: 1024
    .name:           _Z15Type_to_fp8_cvtIfLb0EEvPT_PfS2_m
    .private_segment_fixed_size: 0
    .sgpr_count:     15
    .sgpr_spill_count: 0
    .symbol:         _Z15Type_to_fp8_cvtIfLb0EEvPT_PfS2_m.kd
    .uniform_work_group_size: 1
    .uses_dynamic_stack: false
    .vgpr_count:     5
    .vgpr_spill_count: 0
    .wavefront_size: 32
  - .args:
      - .address_space:  global
        .offset:         0
        .size:           8
        .value_kind:     global_buffer
      - .address_space:  global
        .offset:         8
        .size:           8
        .value_kind:     global_buffer
      - .address_space:  global
        .offset:         16
        .size:           8
        .value_kind:     global_buffer
      - .offset:         24
        .size:           8
        .value_kind:     by_value
      - .offset:         32
        .size:           4
        .value_kind:     hidden_block_count_x
      - .offset:         36
        .size:           4
        .value_kind:     hidden_block_count_y
      - .offset:         40
        .size:           4
        .value_kind:     hidden_block_count_z
      - .offset:         44
        .size:           2
        .value_kind:     hidden_group_size_x
      - .offset:         46
        .size:           2
        .value_kind:     hidden_group_size_y
      - .offset:         48
        .size:           2
        .value_kind:     hidden_group_size_z
      - .offset:         50
        .size:           2
        .value_kind:     hidden_remainder_x
      - .offset:         52
        .size:           2
        .value_kind:     hidden_remainder_y
      - .offset:         54
        .size:           2
        .value_kind:     hidden_remainder_z
      - .offset:         72
        .size:           8
        .value_kind:     hidden_global_offset_x
      - .offset:         80
        .size:           8
        .value_kind:     hidden_global_offset_y
      - .offset:         88
        .size:           8
        .value_kind:     hidden_global_offset_z
      - .offset:         96
        .size:           2
        .value_kind:     hidden_grid_dims
    .group_segment_fixed_size: 0
    .kernarg_segment_align: 8
    .kernarg_segment_size: 288
    .language:       OpenCL C
    .language_version:
      - 2
      - 0
    .max_flat_workgroup_size: 1024
    .name:           _Z15Type_to_fp8_cvtIdLb1EEvPT_PfS2_m
    .private_segment_fixed_size: 0
    .sgpr_count:     15
    .sgpr_spill_count: 0
    .symbol:         _Z15Type_to_fp8_cvtIdLb1EEvPT_PfS2_m.kd
    .uniform_work_group_size: 1
    .uses_dynamic_stack: false
    .vgpr_count:     5
    .vgpr_spill_count: 0
    .wavefront_size: 32
  - .args:
      - .address_space:  global
        .offset:         0
        .size:           8
        .value_kind:     global_buffer
      - .address_space:  global
        .offset:         8
        .size:           8
        .value_kind:     global_buffer
      - .address_space:  global
        .offset:         16
        .size:           8
        .value_kind:     global_buffer
      - .offset:         24
        .size:           8
        .value_kind:     by_value
      - .offset:         32
        .size:           4
        .value_kind:     hidden_block_count_x
      - .offset:         36
        .size:           4
        .value_kind:     hidden_block_count_y
      - .offset:         40
        .size:           4
        .value_kind:     hidden_block_count_z
      - .offset:         44
        .size:           2
        .value_kind:     hidden_group_size_x
      - .offset:         46
        .size:           2
        .value_kind:     hidden_group_size_y
      - .offset:         48
        .size:           2
        .value_kind:     hidden_group_size_z
      - .offset:         50
        .size:           2
        .value_kind:     hidden_remainder_x
      - .offset:         52
        .size:           2
        .value_kind:     hidden_remainder_y
      - .offset:         54
        .size:           2
        .value_kind:     hidden_remainder_z
      - .offset:         72
        .size:           8
        .value_kind:     hidden_global_offset_x
      - .offset:         80
        .size:           8
        .value_kind:     hidden_global_offset_y
      - .offset:         88
        .size:           8
        .value_kind:     hidden_global_offset_z
      - .offset:         96
        .size:           2
        .value_kind:     hidden_grid_dims
    .group_segment_fixed_size: 0
    .kernarg_segment_align: 8
    .kernarg_segment_size: 288
    .language:       OpenCL C
    .language_version:
      - 2
      - 0
    .max_flat_workgroup_size: 1024
    .name:           _Z15Type_to_fp8_cvtIdLb0EEvPT_PfS2_m
    .private_segment_fixed_size: 0
    .sgpr_count:     15
    .sgpr_spill_count: 0
    .symbol:         _Z15Type_to_fp8_cvtIdLb0EEvPT_PfS2_m.kd
    .uniform_work_group_size: 1
    .uses_dynamic_stack: false
    .vgpr_count:     5
    .vgpr_spill_count: 0
    .wavefront_size: 32
amdhsa.target:   amdgcn-amd-amdhsa--gfx1250
amdhsa.version:
  - 1
  - 2
...

	.end_amdgpu_metadata
